;; amdgpu-corpus repo=ROCm/rocFFT kind=compiled arch=gfx1201 opt=O3
	.text
	.amdgcn_target "amdgcn-amd-amdhsa--gfx1201"
	.amdhsa_code_object_version 6
	.protected	fft_rtc_fwd_len1445_factors_17_5_17_wgs_85_tpt_85_halfLds_sp_ip_CI_sbrr_dirReg ; -- Begin function fft_rtc_fwd_len1445_factors_17_5_17_wgs_85_tpt_85_halfLds_sp_ip_CI_sbrr_dirReg
	.globl	fft_rtc_fwd_len1445_factors_17_5_17_wgs_85_tpt_85_halfLds_sp_ip_CI_sbrr_dirReg
	.p2align	8
	.type	fft_rtc_fwd_len1445_factors_17_5_17_wgs_85_tpt_85_halfLds_sp_ip_CI_sbrr_dirReg,@function
fft_rtc_fwd_len1445_factors_17_5_17_wgs_85_tpt_85_halfLds_sp_ip_CI_sbrr_dirReg: ; @fft_rtc_fwd_len1445_factors_17_5_17_wgs_85_tpt_85_halfLds_sp_ip_CI_sbrr_dirReg
; %bb.0:
	s_clause 0x2
	s_load_b64 s[12:13], s[0:1], 0x18
	s_load_b128 s[4:7], s[0:1], 0x0
	s_load_b64 s[10:11], s[0:1], 0x50
	v_mul_u32_u24_e32 v1, 0x304, v0
	v_mov_b32_e32 v3, 0
	s_delay_alu instid0(VALU_DEP_2) | instskip(NEXT) | instid1(VALU_DEP_1)
	v_lshrrev_b32_e32 v1, 16, v1
	v_add_nc_u32_e32 v5, ttmp9, v1
	v_mov_b32_e32 v1, 0
	v_mov_b32_e32 v2, 0
	;; [unrolled: 1-line block ×3, first 2 shown]
	s_wait_kmcnt 0x0
	s_load_b64 s[8:9], s[12:13], 0x0
	v_cmp_lt_u64_e64 s2, s[6:7], 2
	s_delay_alu instid0(VALU_DEP_1)
	s_and_b32 vcc_lo, exec_lo, s2
	s_cbranch_vccnz .LBB0_8
; %bb.1:
	s_load_b64 s[2:3], s[0:1], 0x10
	v_mov_b32_e32 v1, 0
	v_mov_b32_e32 v2, 0
	s_add_nc_u64 s[14:15], s[12:13], 8
	s_mov_b64 s[16:17], 1
	s_wait_kmcnt 0x0
	s_add_nc_u64 s[18:19], s[2:3], 8
	s_mov_b32 s3, 0
.LBB0_2:                                ; =>This Inner Loop Header: Depth=1
	s_load_b64 s[20:21], s[18:19], 0x0
                                        ; implicit-def: $vgpr7_vgpr8
	s_mov_b32 s2, exec_lo
	s_wait_kmcnt 0x0
	v_or_b32_e32 v4, s21, v6
	s_delay_alu instid0(VALU_DEP_1)
	v_cmpx_ne_u64_e32 0, v[3:4]
	s_wait_alu 0xfffe
	s_xor_b32 s22, exec_lo, s2
	s_cbranch_execz .LBB0_4
; %bb.3:                                ;   in Loop: Header=BB0_2 Depth=1
	s_cvt_f32_u32 s2, s20
	s_cvt_f32_u32 s23, s21
	s_sub_nc_u64 s[26:27], 0, s[20:21]
	s_wait_alu 0xfffe
	s_delay_alu instid0(SALU_CYCLE_1) | instskip(SKIP_1) | instid1(SALU_CYCLE_2)
	s_fmamk_f32 s2, s23, 0x4f800000, s2
	s_wait_alu 0xfffe
	v_s_rcp_f32 s2, s2
	s_delay_alu instid0(TRANS32_DEP_1) | instskip(SKIP_1) | instid1(SALU_CYCLE_2)
	s_mul_f32 s2, s2, 0x5f7ffffc
	s_wait_alu 0xfffe
	s_mul_f32 s23, s2, 0x2f800000
	s_wait_alu 0xfffe
	s_delay_alu instid0(SALU_CYCLE_2) | instskip(SKIP_1) | instid1(SALU_CYCLE_2)
	s_trunc_f32 s23, s23
	s_wait_alu 0xfffe
	s_fmamk_f32 s2, s23, 0xcf800000, s2
	s_cvt_u32_f32 s25, s23
	s_wait_alu 0xfffe
	s_delay_alu instid0(SALU_CYCLE_1) | instskip(SKIP_1) | instid1(SALU_CYCLE_2)
	s_cvt_u32_f32 s24, s2
	s_wait_alu 0xfffe
	s_mul_u64 s[28:29], s[26:27], s[24:25]
	s_wait_alu 0xfffe
	s_mul_hi_u32 s31, s24, s29
	s_mul_i32 s30, s24, s29
	s_mul_hi_u32 s2, s24, s28
	s_mul_i32 s33, s25, s28
	s_wait_alu 0xfffe
	s_add_nc_u64 s[30:31], s[2:3], s[30:31]
	s_mul_hi_u32 s23, s25, s28
	s_mul_hi_u32 s34, s25, s29
	s_add_co_u32 s2, s30, s33
	s_wait_alu 0xfffe
	s_add_co_ci_u32 s2, s31, s23
	s_mul_i32 s28, s25, s29
	s_add_co_ci_u32 s29, s34, 0
	s_wait_alu 0xfffe
	s_add_nc_u64 s[28:29], s[2:3], s[28:29]
	s_wait_alu 0xfffe
	v_add_co_u32 v4, s2, s24, s28
	s_delay_alu instid0(VALU_DEP_1) | instskip(SKIP_1) | instid1(VALU_DEP_1)
	s_cmp_lg_u32 s2, 0
	s_add_co_ci_u32 s25, s25, s29
	v_readfirstlane_b32 s24, v4
	s_wait_alu 0xfffe
	s_delay_alu instid0(VALU_DEP_1)
	s_mul_u64 s[26:27], s[26:27], s[24:25]
	s_wait_alu 0xfffe
	s_mul_hi_u32 s29, s24, s27
	s_mul_i32 s28, s24, s27
	s_mul_hi_u32 s2, s24, s26
	s_mul_i32 s30, s25, s26
	s_wait_alu 0xfffe
	s_add_nc_u64 s[28:29], s[2:3], s[28:29]
	s_mul_hi_u32 s23, s25, s26
	s_mul_hi_u32 s24, s25, s27
	s_wait_alu 0xfffe
	s_add_co_u32 s2, s28, s30
	s_add_co_ci_u32 s2, s29, s23
	s_mul_i32 s26, s25, s27
	s_add_co_ci_u32 s27, s24, 0
	s_wait_alu 0xfffe
	s_add_nc_u64 s[26:27], s[2:3], s[26:27]
	s_wait_alu 0xfffe
	v_add_co_u32 v4, s2, v4, s26
	s_delay_alu instid0(VALU_DEP_1) | instskip(SKIP_1) | instid1(VALU_DEP_1)
	s_cmp_lg_u32 s2, 0
	s_add_co_ci_u32 s2, s25, s27
	v_mul_hi_u32 v13, v5, v4
	s_wait_alu 0xfffe
	v_mad_co_u64_u32 v[7:8], null, v5, s2, 0
	v_mad_co_u64_u32 v[9:10], null, v6, v4, 0
	;; [unrolled: 1-line block ×3, first 2 shown]
	s_delay_alu instid0(VALU_DEP_3) | instskip(SKIP_1) | instid1(VALU_DEP_4)
	v_add_co_u32 v4, vcc_lo, v13, v7
	s_wait_alu 0xfffd
	v_add_co_ci_u32_e32 v7, vcc_lo, 0, v8, vcc_lo
	s_delay_alu instid0(VALU_DEP_2) | instskip(SKIP_1) | instid1(VALU_DEP_2)
	v_add_co_u32 v4, vcc_lo, v4, v9
	s_wait_alu 0xfffd
	v_add_co_ci_u32_e32 v4, vcc_lo, v7, v10, vcc_lo
	s_wait_alu 0xfffd
	v_add_co_ci_u32_e32 v7, vcc_lo, 0, v12, vcc_lo
	s_delay_alu instid0(VALU_DEP_2) | instskip(SKIP_1) | instid1(VALU_DEP_2)
	v_add_co_u32 v4, vcc_lo, v4, v11
	s_wait_alu 0xfffd
	v_add_co_ci_u32_e32 v9, vcc_lo, 0, v7, vcc_lo
	s_delay_alu instid0(VALU_DEP_2) | instskip(SKIP_1) | instid1(VALU_DEP_3)
	v_mul_lo_u32 v10, s21, v4
	v_mad_co_u64_u32 v[7:8], null, s20, v4, 0
	v_mul_lo_u32 v11, s20, v9
	s_delay_alu instid0(VALU_DEP_2) | instskip(NEXT) | instid1(VALU_DEP_2)
	v_sub_co_u32 v7, vcc_lo, v5, v7
	v_add3_u32 v8, v8, v11, v10
	s_delay_alu instid0(VALU_DEP_1) | instskip(SKIP_1) | instid1(VALU_DEP_1)
	v_sub_nc_u32_e32 v10, v6, v8
	s_wait_alu 0xfffd
	v_subrev_co_ci_u32_e64 v10, s2, s21, v10, vcc_lo
	v_add_co_u32 v11, s2, v4, 2
	s_wait_alu 0xf1ff
	v_add_co_ci_u32_e64 v12, s2, 0, v9, s2
	v_sub_co_u32 v13, s2, v7, s20
	v_sub_co_ci_u32_e32 v8, vcc_lo, v6, v8, vcc_lo
	s_wait_alu 0xf1ff
	v_subrev_co_ci_u32_e64 v10, s2, 0, v10, s2
	s_delay_alu instid0(VALU_DEP_3) | instskip(NEXT) | instid1(VALU_DEP_3)
	v_cmp_le_u32_e32 vcc_lo, s20, v13
	v_cmp_eq_u32_e64 s2, s21, v8
	s_wait_alu 0xfffd
	v_cndmask_b32_e64 v13, 0, -1, vcc_lo
	v_cmp_le_u32_e32 vcc_lo, s21, v10
	s_wait_alu 0xfffd
	v_cndmask_b32_e64 v14, 0, -1, vcc_lo
	v_cmp_le_u32_e32 vcc_lo, s20, v7
	;; [unrolled: 3-line block ×3, first 2 shown]
	s_wait_alu 0xfffd
	v_cndmask_b32_e64 v15, 0, -1, vcc_lo
	v_cmp_eq_u32_e32 vcc_lo, s21, v10
	s_wait_alu 0xf1ff
	s_delay_alu instid0(VALU_DEP_2)
	v_cndmask_b32_e64 v7, v15, v7, s2
	s_wait_alu 0xfffd
	v_cndmask_b32_e32 v10, v14, v13, vcc_lo
	v_add_co_u32 v13, vcc_lo, v4, 1
	s_wait_alu 0xfffd
	v_add_co_ci_u32_e32 v14, vcc_lo, 0, v9, vcc_lo
	s_delay_alu instid0(VALU_DEP_3) | instskip(SKIP_2) | instid1(VALU_DEP_3)
	v_cmp_ne_u32_e32 vcc_lo, 0, v10
	s_wait_alu 0xfffd
	v_cndmask_b32_e32 v10, v13, v11, vcc_lo
	v_cndmask_b32_e32 v8, v14, v12, vcc_lo
	v_cmp_ne_u32_e32 vcc_lo, 0, v7
	s_wait_alu 0xfffd
	s_delay_alu instid0(VALU_DEP_2)
	v_dual_cndmask_b32 v7, v4, v10 :: v_dual_cndmask_b32 v8, v9, v8
.LBB0_4:                                ;   in Loop: Header=BB0_2 Depth=1
	s_wait_alu 0xfffe
	s_and_not1_saveexec_b32 s2, s22
	s_cbranch_execz .LBB0_6
; %bb.5:                                ;   in Loop: Header=BB0_2 Depth=1
	v_cvt_f32_u32_e32 v4, s20
	s_sub_co_i32 s22, 0, s20
	s_delay_alu instid0(VALU_DEP_1) | instskip(NEXT) | instid1(TRANS32_DEP_1)
	v_rcp_iflag_f32_e32 v4, v4
	v_mul_f32_e32 v4, 0x4f7ffffe, v4
	s_delay_alu instid0(VALU_DEP_1) | instskip(SKIP_1) | instid1(VALU_DEP_1)
	v_cvt_u32_f32_e32 v4, v4
	s_wait_alu 0xfffe
	v_mul_lo_u32 v7, s22, v4
	s_delay_alu instid0(VALU_DEP_1) | instskip(NEXT) | instid1(VALU_DEP_1)
	v_mul_hi_u32 v7, v4, v7
	v_add_nc_u32_e32 v4, v4, v7
	s_delay_alu instid0(VALU_DEP_1) | instskip(NEXT) | instid1(VALU_DEP_1)
	v_mul_hi_u32 v4, v5, v4
	v_mul_lo_u32 v7, v4, s20
	v_add_nc_u32_e32 v8, 1, v4
	s_delay_alu instid0(VALU_DEP_2) | instskip(NEXT) | instid1(VALU_DEP_1)
	v_sub_nc_u32_e32 v7, v5, v7
	v_subrev_nc_u32_e32 v9, s20, v7
	v_cmp_le_u32_e32 vcc_lo, s20, v7
	s_wait_alu 0xfffd
	s_delay_alu instid0(VALU_DEP_2) | instskip(NEXT) | instid1(VALU_DEP_1)
	v_dual_cndmask_b32 v7, v7, v9 :: v_dual_cndmask_b32 v4, v4, v8
	v_cmp_le_u32_e32 vcc_lo, s20, v7
	s_delay_alu instid0(VALU_DEP_2) | instskip(SKIP_1) | instid1(VALU_DEP_1)
	v_add_nc_u32_e32 v8, 1, v4
	s_wait_alu 0xfffd
	v_dual_cndmask_b32 v7, v4, v8 :: v_dual_mov_b32 v8, v3
.LBB0_6:                                ;   in Loop: Header=BB0_2 Depth=1
	s_wait_alu 0xfffe
	s_or_b32 exec_lo, exec_lo, s2
	s_load_b64 s[22:23], s[14:15], 0x0
	s_delay_alu instid0(VALU_DEP_1)
	v_mul_lo_u32 v4, v8, s20
	v_mul_lo_u32 v11, v7, s21
	v_mad_co_u64_u32 v[9:10], null, v7, s20, 0
	s_add_nc_u64 s[16:17], s[16:17], 1
	s_add_nc_u64 s[14:15], s[14:15], 8
	s_wait_alu 0xfffe
	v_cmp_ge_u64_e64 s2, s[16:17], s[6:7]
	s_add_nc_u64 s[18:19], s[18:19], 8
	s_delay_alu instid0(VALU_DEP_2) | instskip(NEXT) | instid1(VALU_DEP_3)
	v_add3_u32 v4, v10, v11, v4
	v_sub_co_u32 v5, vcc_lo, v5, v9
	s_wait_alu 0xfffd
	s_delay_alu instid0(VALU_DEP_2) | instskip(SKIP_3) | instid1(VALU_DEP_2)
	v_sub_co_ci_u32_e32 v4, vcc_lo, v6, v4, vcc_lo
	s_and_b32 vcc_lo, exec_lo, s2
	s_wait_kmcnt 0x0
	v_mul_lo_u32 v6, s23, v5
	v_mul_lo_u32 v4, s22, v4
	v_mad_co_u64_u32 v[1:2], null, s22, v5, v[1:2]
	s_delay_alu instid0(VALU_DEP_1)
	v_add3_u32 v2, v6, v2, v4
	s_wait_alu 0xfffe
	s_cbranch_vccnz .LBB0_9
; %bb.7:                                ;   in Loop: Header=BB0_2 Depth=1
	v_dual_mov_b32 v5, v7 :: v_dual_mov_b32 v6, v8
	s_branch .LBB0_2
.LBB0_8:
	v_dual_mov_b32 v8, v6 :: v_dual_mov_b32 v7, v5
.LBB0_9:
	s_lshl_b64 s[2:3], s[6:7], 3
	v_mul_hi_u32 v3, 0x3030304, v0
	s_wait_alu 0xfffe
	s_add_nc_u64 s[2:3], s[12:13], s[2:3]
	s_load_b64 s[0:1], s[0:1], 0x20
	s_load_b64 s[2:3], s[2:3], 0x0
                                        ; implicit-def: $sgpr6
	s_delay_alu instid0(VALU_DEP_1) | instskip(NEXT) | instid1(VALU_DEP_1)
	v_mul_u32_u24_e32 v3, 0x55, v3
	v_sub_nc_u32_e32 v49, v0, v3
	s_delay_alu instid0(VALU_DEP_1)
	v_add_nc_u32_e32 v52, 0x55, v49
	v_add_nc_u32_e32 v51, 0xaa, v49
	;; [unrolled: 1-line block ×3, first 2 shown]
	s_wait_kmcnt 0x0
	v_cmp_gt_u64_e32 vcc_lo, s[0:1], v[7:8]
	v_mul_lo_u32 v3, s2, v8
	v_mul_lo_u32 v4, s3, v7
	v_mad_co_u64_u32 v[0:1], null, s2, v7, v[1:2]
	v_cmp_le_u64_e64 s0, s[0:1], v[7:8]
                                        ; implicit-def: $sgpr2_sgpr3
	s_delay_alu instid0(VALU_DEP_2) | instskip(NEXT) | instid1(VALU_DEP_2)
	v_add3_u32 v1, v4, v1, v3
	s_and_saveexec_b32 s1, s0
	s_wait_alu 0xfffe
	s_xor_b32 s0, exec_lo, s1
; %bb.10:
	v_add_nc_u32_e32 v52, 0x55, v49
	v_add_nc_u32_e32 v51, 0xaa, v49
	;; [unrolled: 1-line block ×3, first 2 shown]
	s_mov_b32 s6, 0
	s_mov_b64 s[2:3], 0
; %bb.11:
	s_wait_alu 0xfffe
	s_or_saveexec_b32 s1, s0
	v_dual_mov_b32 v48, s6 :: v_dual_mov_b32 v17, s3
	v_lshlrev_b64_e32 v[0:1], 3, v[0:1]
	v_mov_b32_e32 v16, s2
                                        ; implicit-def: $vgpr41
                                        ; implicit-def: $vgpr25
                                        ; implicit-def: $vgpr19
                                        ; implicit-def: $vgpr21
                                        ; implicit-def: $vgpr13
                                        ; implicit-def: $vgpr9
                                        ; implicit-def: $vgpr3
                                        ; implicit-def: $vgpr5
                                        ; implicit-def: $vgpr45
                                        ; implicit-def: $vgpr47
                                        ; implicit-def: $vgpr43
                                        ; implicit-def: $vgpr29
                                        ; implicit-def: $vgpr23
                                        ; implicit-def: $vgpr15
                                        ; implicit-def: $vgpr11
                                        ; implicit-def: $vgpr7
	s_wait_alu 0xfffe
	s_xor_b32 exec_lo, exec_lo, s1
	s_cbranch_execz .LBB0_13
; %bb.12:
	v_mad_co_u64_u32 v[2:3], null, s8, v49, 0
	v_mad_co_u64_u32 v[4:5], null, s8, v52, 0
	;; [unrolled: 1-line block ×3, first 2 shown]
	v_add_nc_u32_e32 v15, 0x154, v49
	v_add_nc_u32_e32 v26, 0x253, v49
	v_add_co_u32 v42, s0, s10, v0
	v_mad_co_u64_u32 v[8:9], null, s9, v49, v[3:4]
	v_mad_co_u64_u32 v[9:10], null, s9, v52, v[5:6]
	s_delay_alu instid0(VALU_DEP_4) | instskip(SKIP_2) | instid1(VALU_DEP_4)
	v_mad_co_u64_u32 v[22:23], null, s8, v26, 0
	s_wait_alu 0xf1ff
	v_add_co_ci_u32_e64 v43, s0, s11, v1, s0
	v_mad_co_u64_u32 v[10:11], null, s9, v51, v[7:8]
	v_mad_co_u64_u32 v[11:12], null, s8, v50, 0
	v_mov_b32_e32 v3, v8
	v_dual_mov_b32 v5, v9 :: v_dual_add_nc_u32 v16, 0x1a9, v49
	v_add_nc_u32_e32 v37, 0x4a6, v49
	v_add_nc_u32_e32 v44, 0x4fb, v49
	v_dual_mov_b32 v8, v12 :: v_dual_add_nc_u32 v45, 0x550, v49
	s_delay_alu instid0(VALU_DEP_4) | instskip(SKIP_2) | instid1(VALU_DEP_4)
	v_mad_co_u64_u32 v[13:14], null, s8, v16, 0
	v_lshlrev_b64_e32 v[2:3], 3, v[2:3]
	v_lshlrev_b64_e32 v[4:5], 3, v[4:5]
	v_mad_co_u64_u32 v[8:9], null, s9, v50, v[8:9]
	v_mov_b32_e32 v7, v10
	v_mad_co_u64_u32 v[9:10], null, s8, v15, 0
	v_add_co_u32 v2, s0, v42, v2
	s_wait_alu 0xf1ff
	v_add_co_ci_u32_e64 v3, s0, v43, v3, s0
	v_mov_b32_e32 v12, v8
	v_lshlrev_b64_e32 v[6:7], 3, v[6:7]
	v_mov_b32_e32 v8, v10
	v_mov_b32_e32 v10, v14
	v_add_co_u32 v4, s0, v42, v4
	v_lshlrev_b64_e32 v[11:12], 3, v[11:12]
	s_delay_alu instid0(VALU_DEP_4) | instskip(SKIP_3) | instid1(VALU_DEP_4)
	v_mad_co_u64_u32 v[14:15], null, s9, v15, v[8:9]
	v_add_nc_u32_e32 v8, 0x1fe, v49
	s_wait_alu 0xf1ff
	v_add_co_ci_u32_e64 v5, s0, v43, v5, s0
	v_mad_co_u64_u32 v[15:16], null, s9, v16, v[10:11]
	v_add_co_u32 v6, s0, v42, v6
	v_mad_co_u64_u32 v[20:21], null, s8, v8, 0
	s_wait_alu 0xf1ff
	v_add_co_ci_u32_e64 v7, s0, v43, v7, s0
	v_mov_b32_e32 v10, v14
	v_mov_b32_e32 v14, v15
	v_add_co_u32 v11, s0, v42, v11
	s_wait_alu 0xf1ff
	v_add_co_ci_u32_e64 v12, s0, v43, v12, s0
	s_clause 0x3
	global_load_b64 v[16:17], v[2:3], off
	global_load_b64 v[40:41], v[4:5], off
	;; [unrolled: 1-line block ×4, first 2 shown]
	v_lshlrev_b64_e32 v[5:6], 3, v[13:14]
	v_dual_mov_b32 v4, v21 :: v_dual_add_nc_u32 v13, 0x2a8, v49
	v_lshlrev_b64_e32 v[2:3], 3, v[9:10]
	v_dual_mov_b32 v7, v23 :: v_dual_mov_b32 v48, v49
	s_delay_alu instid0(VALU_DEP_3) | instskip(NEXT) | instid1(VALU_DEP_3)
	v_mad_co_u64_u32 v[8:9], null, s9, v8, v[4:5]
	v_add_co_u32 v2, s0, v42, v2
	s_wait_alu 0xf1ff
	s_delay_alu instid0(VALU_DEP_4) | instskip(SKIP_1) | instid1(VALU_DEP_4)
	v_add_co_ci_u32_e64 v3, s0, v43, v3, s0
	v_add_co_u32 v4, s0, v42, v5
	v_mov_b32_e32 v21, v8
	v_mad_co_u64_u32 v[9:10], null, s9, v26, v[7:8]
	v_mad_co_u64_u32 v[10:11], null, s8, v13, 0
	s_delay_alu instid0(VALU_DEP_3) | instskip(SKIP_2) | instid1(VALU_DEP_4)
	v_lshlrev_b64_e32 v[7:8], 3, v[20:21]
	s_wait_alu 0xf1ff
	v_add_co_ci_u32_e64 v5, s0, v43, v6, s0
	v_mov_b32_e32 v23, v9
	s_delay_alu instid0(VALU_DEP_4) | instskip(NEXT) | instid1(VALU_DEP_2)
	v_dual_mov_b32 v6, v11 :: v_dual_add_nc_u32 v9, 0x2fd, v49
	v_lshlrev_b64_e32 v[11:12], 3, v[22:23]
	s_delay_alu instid0(VALU_DEP_2) | instskip(NEXT) | instid1(VALU_DEP_3)
	v_mad_co_u64_u32 v[13:14], null, s9, v13, v[6:7]
	v_mad_co_u64_u32 v[14:15], null, s8, v9, 0
	v_add_co_u32 v6, s0, v42, v7
	s_wait_alu 0xf1ff
	v_add_co_ci_u32_e64 v7, s0, v43, v8, s0
	v_add_co_u32 v22, s0, v42, v11
	s_delay_alu instid0(VALU_DEP_4) | instskip(SKIP_3) | instid1(VALU_DEP_3)
	v_mov_b32_e32 v8, v15
	s_wait_alu 0xf1ff
	v_add_co_ci_u32_e64 v23, s0, v43, v12, s0
	v_mov_b32_e32 v11, v13
	v_mad_co_u64_u32 v[28:29], null, s9, v9, v[8:9]
	s_clause 0x3
	global_load_b64 v[20:21], v[2:3], off
	global_load_b64 v[12:13], v[4:5], off
	;; [unrolled: 1-line block ×4, first 2 shown]
	v_add_nc_u32_e32 v30, 0x352, v49
	v_add_nc_u32_e32 v29, 0x3a7, v49
	v_lshlrev_b64_e32 v[4:5], 3, v[10:11]
	v_mov_b32_e32 v15, v28
	s_delay_alu instid0(VALU_DEP_4) | instskip(NEXT) | instid1(VALU_DEP_4)
	v_mad_co_u64_u32 v[26:27], null, s8, v30, 0
	v_mad_co_u64_u32 v[10:11], null, s8, v29, 0
	s_delay_alu instid0(VALU_DEP_3) | instskip(SKIP_4) | instid1(VALU_DEP_4)
	v_lshlrev_b64_e32 v[14:15], 3, v[14:15]
	v_add_co_u32 v4, s0, v42, v4
	s_wait_alu 0xf1ff
	v_add_co_ci_u32_e64 v5, s0, v43, v5, s0
	v_mov_b32_e32 v6, v27
	v_add_co_u32 v14, s0, v42, v14
	s_wait_alu 0xf1ff
	v_add_co_ci_u32_e64 v15, s0, v43, v15, s0
	s_delay_alu instid0(VALU_DEP_3) | instskip(SKIP_1) | instid1(VALU_DEP_2)
	v_mad_co_u64_u32 v[6:7], null, s9, v30, v[6:7]
	v_dual_mov_b32 v7, v11 :: v_dual_add_nc_u32 v30, 0x3fc, v49
	v_mov_b32_e32 v27, v6
	s_delay_alu instid0(VALU_DEP_2) | instskip(NEXT) | instid1(VALU_DEP_2)
	v_mad_co_u64_u32 v[22:23], null, s8, v30, 0
	v_lshlrev_b64_e32 v[26:27], 3, v[26:27]
	s_delay_alu instid0(VALU_DEP_1) | instskip(SKIP_1) | instid1(VALU_DEP_2)
	v_add_co_u32 v26, s0, v42, v26
	s_wait_alu 0xf1ff
	v_add_co_ci_u32_e64 v27, s0, v43, v27, s0
	s_wait_loadcnt 0x1
	v_mad_co_u64_u32 v[6:7], null, s9, v29, v[7:8]
	s_delay_alu instid0(VALU_DEP_1) | instskip(NEXT) | instid1(VALU_DEP_1)
	v_dual_mov_b32 v11, v6 :: v_dual_add_nc_u32 v34, 0x451, v49
	v_mad_co_u64_u32 v[28:29], null, s8, v34, 0
	v_mov_b32_e32 v6, v23
	s_delay_alu instid0(VALU_DEP_3) | instskip(NEXT) | instid1(VALU_DEP_2)
	v_lshlrev_b64_e32 v[10:11], 3, v[10:11]
	v_mad_co_u64_u32 v[6:7], null, s9, v30, v[6:7]
	s_delay_alu instid0(VALU_DEP_4) | instskip(SKIP_1) | instid1(VALU_DEP_4)
	v_mov_b32_e32 v7, v29
	v_mad_co_u64_u32 v[30:31], null, s8, v37, 0
	v_add_co_u32 v32, s0, v42, v10
	s_delay_alu instid0(VALU_DEP_3)
	v_mad_co_u64_u32 v[34:35], null, s9, v34, v[7:8]
	v_mov_b32_e32 v23, v6
	v_mad_co_u64_u32 v[35:36], null, s8, v44, 0
	v_mov_b32_e32 v6, v31
	s_wait_alu 0xf1ff
	v_add_co_ci_u32_e64 v33, s0, v43, v11, s0
	v_mov_b32_e32 v29, v34
	v_lshlrev_b64_e32 v[22:23], 3, v[22:23]
	v_mad_co_u64_u32 v[37:38], null, s9, v37, v[6:7]
	v_mad_co_u64_u32 v[38:39], null, s8, v45, 0
	s_clause 0x3
	global_load_b64 v[4:5], v[4:5], off
	global_load_b64 v[6:7], v[14:15], off
	;; [unrolled: 1-line block ×4, first 2 shown]
	v_mov_b32_e32 v26, v36
	v_lshlrev_b64_e32 v[28:29], 3, v[28:29]
	v_add_co_u32 v22, s0, v42, v22
	s_wait_alu 0xf1ff
	v_add_co_ci_u32_e64 v23, s0, v43, v23, s0
	v_mad_co_u64_u32 v[26:27], null, s9, v44, v[26:27]
	v_mov_b32_e32 v27, v39
	v_mov_b32_e32 v31, v37
	s_delay_alu instid0(VALU_DEP_2) | instskip(NEXT) | instid1(VALU_DEP_4)
	v_mad_co_u64_u32 v[32:33], null, s9, v45, v[27:28]
	v_mov_b32_e32 v36, v26
	s_delay_alu instid0(VALU_DEP_3)
	v_lshlrev_b64_e32 v[30:31], 3, v[30:31]
	v_add_co_u32 v26, s0, v42, v28
	s_wait_alu 0xf1ff
	v_add_co_ci_u32_e64 v27, s0, v43, v29, s0
	v_mov_b32_e32 v39, v32
	v_lshlrev_b64_e32 v[28:29], 3, v[35:36]
	v_add_co_u32 v30, s0, v42, v30
	s_wait_alu 0xf1ff
	v_add_co_ci_u32_e64 v31, s0, v43, v31, s0
	v_lshlrev_b64_e32 v[32:33], 3, v[38:39]
	s_delay_alu instid0(VALU_DEP_4) | instskip(SKIP_2) | instid1(VALU_DEP_3)
	v_add_co_u32 v34, s0, v42, v28
	s_wait_alu 0xf1ff
	v_add_co_ci_u32_e64 v35, s0, v43, v29, s0
	v_add_co_u32 v32, s0, v42, v32
	s_wait_alu 0xf1ff
	v_add_co_ci_u32_e64 v33, s0, v43, v33, s0
	s_clause 0x4
	global_load_b64 v[22:23], v[22:23], off
	global_load_b64 v[28:29], v[26:27], off
	global_load_b64 v[42:43], v[30:31], off
	global_load_b64 v[46:47], v[34:35], off
	global_load_b64 v[44:45], v[32:33], off
.LBB0_13:
	s_or_b32 exec_lo, exec_lo, s1
	s_wait_loadcnt 0x0
	v_dual_add_f32 v27, v40, v44 :: v_dual_sub_f32 v30, v41, v45
	v_add_f32_e32 v26, v40, v16
	v_dual_add_f32 v31, v24, v46 :: v_dual_sub_f32 v32, v25, v47
	s_delay_alu instid0(VALU_DEP_3) | instskip(NEXT) | instid1(VALU_DEP_3)
	v_mul_f32_e32 v33, 0x3f6eb680, v27
	v_dual_mul_f32 v35, 0x3ee437d1, v27 :: v_dual_add_f32 v26, v24, v26
	v_cmp_gt_u32_e64 s0, 34, v49
	v_mul_f32_e32 v37, 0xbe8c1d8e, v27
	s_delay_alu instid0(VALU_DEP_4) | instskip(SKIP_4) | instid1(VALU_DEP_3)
	v_fmamk_f32 v57, v30, 0x3eb8f4ab, v33
	v_mul_f32_e32 v34, 0x3f3d2fb0, v27
	v_dual_add_f32 v26, v18, v26 :: v_dual_mul_f32 v39, 0xbf59a7d5, v27
	v_fmac_f32_e32 v33, 0xbeb8f4ab, v30
	v_mul_f32_e32 v36, 0x3dbcf732, v27
	v_dual_fmamk_f32 v59, v30, 0x3f65296c, v35 :: v_dual_add_f32 v26, v20, v26
	v_mul_f32_e32 v38, 0xbf1a4643, v27
	v_mul_f32_e32 v27, 0xbf7ba420, v27
	v_fmamk_f32 v61, v30, 0x3f763a35, v37
	v_fmac_f32_e32 v37, 0xbf763a35, v30
	v_dual_add_f32 v26, v12, v26 :: v_dual_mul_f32 v53, 0x3f3d2fb0, v31
	s_delay_alu instid0(VALU_DEP_4) | instskip(SKIP_1) | instid1(VALU_DEP_3)
	v_fmamk_f32 v64, v30, 0x3e3c28d5, v27
	v_fmac_f32_e32 v27, 0xbe3c28d5, v30
	v_dual_add_f32 v37, v37, v16 :: v_dual_add_f32 v26, v8, v26
	s_delay_alu instid0(VALU_DEP_1) | instskip(NEXT) | instid1(VALU_DEP_1)
	v_dual_mul_f32 v55, 0xbf1a4643, v31 :: v_dual_add_f32 v26, v2, v26
	v_dual_add_f32 v26, v4, v26 :: v_dual_add_f32 v57, v57, v16
	v_fmamk_f32 v58, v30, 0x3f2c7751, v34
	v_fmac_f32_e32 v34, 0xbf2c7751, v30
	v_fmac_f32_e32 v35, 0xbf65296c, v30
	s_delay_alu instid0(VALU_DEP_4) | instskip(NEXT) | instid1(VALU_DEP_4)
	v_add_f32_e32 v26, v6, v26
	v_add_f32_e32 v58, v58, v16
	s_delay_alu instid0(VALU_DEP_2) | instskip(NEXT) | instid1(VALU_DEP_1)
	v_dual_add_f32 v33, v33, v16 :: v_dual_add_f32 v26, v10, v26
	v_add_f32_e32 v26, v14, v26
	s_delay_alu instid0(VALU_DEP_1) | instskip(NEXT) | instid1(VALU_DEP_1)
	v_add_f32_e32 v26, v22, v26
	v_dual_fmamk_f32 v63, v30, 0x3f06c442, v39 :: v_dual_add_f32 v26, v28, v26
	s_delay_alu instid0(VALU_DEP_1) | instskip(NEXT) | instid1(VALU_DEP_1)
	v_dual_fmamk_f32 v60, v30, 0x3f7ee86f, v36 :: v_dual_add_f32 v63, v63, v16
	v_add_f32_e32 v60, v60, v16
	v_dual_add_f32 v59, v59, v16 :: v_dual_fmamk_f32 v62, v30, 0x3f4c4adb, v38
	v_fmac_f32_e32 v38, 0xbf4c4adb, v30
	v_fmamk_f32 v66, v32, 0x3f4c4adb, v55
	v_fmac_f32_e32 v55, 0xbf4c4adb, v32
	s_delay_alu instid0(VALU_DEP_3)
	v_dual_fmac_f32 v39, 0xbf06c442, v30 :: v_dual_add_f32 v38, v38, v16
	v_fmac_f32_e32 v36, 0xbf7ee86f, v30
	v_fmamk_f32 v30, v32, 0x3f2c7751, v53
	v_fmac_f32_e32 v53, 0xbf2c7751, v32
	v_add_f32_e32 v34, v34, v16
	v_dual_mul_f32 v54, 0x3dbcf732, v31 :: v_dual_add_f32 v35, v35, v16
	v_add_f32_e32 v39, v39, v16
	v_add_f32_e32 v36, v36, v16
	v_dual_mul_f32 v56, 0xbf7ba420, v31 :: v_dual_add_f32 v61, v61, v16
	s_delay_alu instid0(VALU_DEP_4) | instskip(SKIP_2) | instid1(VALU_DEP_4)
	v_fmamk_f32 v65, v32, 0x3f7ee86f, v54
	v_add_f32_e32 v35, v55, v35
	v_mul_f32_e32 v55, 0xbe8c1d8e, v31
	v_dual_fmamk_f32 v67, v32, 0x3e3c28d5, v56 :: v_dual_add_f32 v26, v42, v26
	v_fmac_f32_e32 v56, 0xbe3c28d5, v32
	v_add_f32_e32 v64, v64, v16
	v_add_f32_e32 v27, v27, v16
	;; [unrolled: 1-line block ×3, first 2 shown]
	s_delay_alu instid0(VALU_DEP_4)
	v_add_f32_e32 v36, v56, v36
	v_fmamk_f32 v56, v32, 0xbf763a35, v55
	v_dual_fmac_f32 v55, 0x3f763a35, v32 :: v_dual_add_f32 v16, v46, v26
	v_add_f32_e32 v26, v53, v33
	v_dual_add_f32 v33, v65, v58 :: v_dual_add_f32 v30, v30, v57
	v_add_f32_e32 v57, v67, v60
	v_dual_fmac_f32 v54, 0xbf7ee86f, v32 :: v_dual_add_f32 v53, v66, v59
	s_delay_alu instid0(VALU_DEP_1) | instskip(SKIP_2) | instid1(VALU_DEP_1)
	v_dual_mul_f32 v59, 0x3ee437d1, v31 :: v_dual_add_f32 v34, v54, v34
	v_mul_f32_e32 v54, 0xbf59a7d5, v31
	v_dual_mul_f32 v31, 0x3f6eb680, v31 :: v_dual_add_f32 v38, v55, v38
	v_dual_add_f32 v55, v18, v42 :: v_dual_fmamk_f32 v60, v32, 0xbeb8f4ab, v31
	v_fmac_f32_e32 v31, 0x3eb8f4ab, v32
	s_delay_alu instid0(VALU_DEP_4) | instskip(NEXT) | instid1(VALU_DEP_2)
	v_fmamk_f32 v58, v32, 0xbf06c442, v54
	v_dual_fmac_f32 v54, 0x3f06c442, v32 :: v_dual_add_f32 v27, v31, v27
	s_delay_alu instid0(VALU_DEP_2) | instskip(NEXT) | instid1(VALU_DEP_2)
	v_dual_add_f32 v58, v58, v61 :: v_dual_mul_f32 v31, 0xbf7ba420, v55
	v_add_f32_e32 v37, v54, v37
	v_dual_sub_f32 v61, v19, v43 :: v_dual_add_f32 v54, v56, v62
	v_fmamk_f32 v56, v32, 0xbf65296c, v59
	v_fmac_f32_e32 v59, 0x3f65296c, v32
	v_add_f32_e32 v16, v44, v16
	v_mul_f32_e32 v62, 0x3ee437d1, v55
	s_delay_alu instid0(VALU_DEP_3) | instskip(SKIP_2) | instid1(VALU_DEP_4)
	v_dual_add_f32 v32, v60, v64 :: v_dual_add_f32 v39, v59, v39
	v_mul_f32_e32 v59, 0xbf1a4643, v55
	v_add_f32_e32 v56, v56, v63
	v_fmamk_f32 v60, v61, 0x3f65296c, v62
	v_fmac_f32_e32 v62, 0xbf65296c, v61
	s_delay_alu instid0(VALU_DEP_4) | instskip(NEXT) | instid1(VALU_DEP_3)
	v_fmamk_f32 v63, v61, 0x3f4c4adb, v59
	v_dual_fmac_f32 v59, 0xbf4c4adb, v61 :: v_dual_add_f32 v30, v60, v30
	s_delay_alu instid0(VALU_DEP_3) | instskip(NEXT) | instid1(VALU_DEP_3)
	v_add_f32_e32 v26, v62, v26
	v_dual_mul_f32 v62, 0xbe8c1d8e, v55 :: v_dual_add_f32 v33, v63, v33
	s_delay_alu instid0(VALU_DEP_3) | instskip(SKIP_2) | instid1(VALU_DEP_3)
	v_dual_add_f32 v34, v59, v34 :: v_dual_mul_f32 v59, 0x3f3d2fb0, v55
	v_fmamk_f32 v60, v61, 0xbe3c28d5, v31
	v_fmac_f32_e32 v31, 0x3e3c28d5, v61
	v_fmamk_f32 v63, v61, 0xbf2c7751, v59
	s_delay_alu instid0(VALU_DEP_3) | instskip(NEXT) | instid1(VALU_DEP_3)
	v_add_f32_e32 v53, v60, v53
	v_add_f32_e32 v31, v31, v35
	s_delay_alu instid0(VALU_DEP_3) | instskip(SKIP_4) | instid1(VALU_DEP_2)
	v_dual_mul_f32 v35, 0x3f6eb680, v55 :: v_dual_add_f32 v58, v63, v58
	v_sub_f32_e32 v63, v21, v29
	v_fmamk_f32 v60, v61, 0xbf763a35, v62
	v_fmac_f32_e32 v62, 0x3f763a35, v61
	v_fmac_f32_e32 v59, 0x3f2c7751, v61
	v_dual_add_f32 v57, v60, v57 :: v_dual_add_f32 v36, v62, v36
	v_fmamk_f32 v60, v61, 0x3eb8f4ab, v35
	v_fmac_f32_e32 v35, 0xbeb8f4ab, v61
	s_delay_alu instid0(VALU_DEP_4) | instskip(SKIP_1) | instid1(VALU_DEP_4)
	v_add_f32_e32 v37, v59, v37
	v_mul_f32_e32 v59, 0x3dbcf732, v55
	v_dual_mul_f32 v55, 0xbf59a7d5, v55 :: v_dual_add_f32 v54, v60, v54
	s_delay_alu instid0(VALU_DEP_4) | instskip(NEXT) | instid1(VALU_DEP_2)
	v_dual_add_f32 v35, v35, v38 :: v_dual_add_f32 v38, v20, v28
	v_fmamk_f32 v62, v61, 0x3f06c442, v55
	v_fmac_f32_e32 v55, 0xbf06c442, v61
	s_delay_alu instid0(VALU_DEP_3) | instskip(SKIP_1) | instid1(VALU_DEP_3)
	v_mul_f32_e32 v64, 0x3dbcf732, v38
	v_fmamk_f32 v60, v61, 0x3f7ee86f, v59
	v_dual_add_f32 v32, v62, v32 :: v_dual_add_f32 v27, v55, v27
	v_mul_f32_e32 v55, 0xbe8c1d8e, v38
	v_fmac_f32_e32 v59, 0xbf7ee86f, v61
	v_mul_f32_e32 v62, 0x3f6eb680, v38
	s_delay_alu instid0(VALU_DEP_3) | instskip(SKIP_1) | instid1(VALU_DEP_4)
	v_fmamk_f32 v61, v63, 0xbf763a35, v55
	v_fmac_f32_e32 v55, 0x3f763a35, v63
	v_add_f32_e32 v39, v59, v39
	s_delay_alu instid0(VALU_DEP_3) | instskip(SKIP_1) | instid1(VALU_DEP_4)
	v_add_f32_e32 v53, v61, v53
	v_dual_fmamk_f32 v59, v63, 0x3f7ee86f, v64 :: v_dual_add_f32 v56, v60, v56
	v_add_f32_e32 v31, v55, v31
	v_mul_f32_e32 v55, 0xbf59a7d5, v38
	s_delay_alu instid0(VALU_DEP_3) | instskip(NEXT) | instid1(VALU_DEP_2)
	v_add_f32_e32 v30, v59, v30
	v_fmamk_f32 v61, v63, 0x3f06c442, v55
	v_fmac_f32_e32 v55, 0xbf06c442, v63
	v_mul_f32_e32 v60, 0xbf7ba420, v38
	s_delay_alu instid0(VALU_DEP_2) | instskip(NEXT) | instid1(VALU_DEP_2)
	v_dual_add_f32 v54, v61, v54 :: v_dual_add_f32 v35, v55, v35
	v_fmamk_f32 v59, v63, 0x3e3c28d5, v60
	v_dual_fmac_f32 v60, 0xbe3c28d5, v63 :: v_dual_add_f32 v55, v12, v22
	s_delay_alu instid0(VALU_DEP_1) | instskip(SKIP_4) | instid1(VALU_DEP_4)
	v_dual_add_f32 v33, v59, v33 :: v_dual_add_f32 v34, v60, v34
	v_fmamk_f32 v59, v63, 0xbeb8f4ab, v62
	v_mul_f32_e32 v60, 0x3ee437d1, v38
	v_fmac_f32_e32 v62, 0x3eb8f4ab, v63
	v_mul_f32_e32 v61, 0xbe8c1d8e, v55
	v_add_f32_e32 v57, v59, v57
	s_delay_alu instid0(VALU_DEP_3) | instskip(SKIP_2) | instid1(VALU_DEP_3)
	v_dual_fmamk_f32 v59, v63, 0x3f65296c, v60 :: v_dual_add_f32 v36, v62, v36
	v_mul_f32_e32 v62, 0xbf1a4643, v38
	v_mul_f32_e32 v38, 0x3f3d2fb0, v38
	v_add_f32_e32 v58, v59, v58
	s_delay_alu instid0(VALU_DEP_3) | instskip(SKIP_1) | instid1(VALU_DEP_1)
	v_fmamk_f32 v59, v63, 0xbf4c4adb, v62
	v_fmac_f32_e32 v62, 0x3f4c4adb, v63
	v_add_f32_e32 v39, v62, v39
	v_fmac_f32_e32 v60, 0xbf65296c, v63
	s_delay_alu instid0(VALU_DEP_1) | instskip(SKIP_1) | instid1(VALU_DEP_2)
	v_dual_fmac_f32 v64, 0xbf7ee86f, v63 :: v_dual_add_f32 v37, v60, v37
	v_sub_f32_e32 v60, v13, v23
	v_add_f32_e32 v26, v64, v26
	s_delay_alu instid0(VALU_DEP_2) | instskip(NEXT) | instid1(VALU_DEP_1)
	v_fmamk_f32 v62, v60, 0x3f763a35, v61
	v_dual_fmac_f32 v61, 0xbf763a35, v60 :: v_dual_add_f32 v30, v62, v30
	v_add_f32_e32 v56, v59, v56
	s_delay_alu instid0(VALU_DEP_2) | instskip(SKIP_2) | instid1(VALU_DEP_3)
	v_dual_fmamk_f32 v59, v63, 0xbf2c7751, v38 :: v_dual_add_f32 v26, v61, v26
	v_fmac_f32_e32 v38, 0x3f2c7751, v63
	v_mul_f32_e32 v62, 0x3ee437d1, v55
	v_dual_add_f32 v32, v59, v32 :: v_dual_mul_f32 v59, 0xbf59a7d5, v55
	s_delay_alu instid0(VALU_DEP_3) | instskip(SKIP_1) | instid1(VALU_DEP_1)
	v_add_f32_e32 v27, v38, v27
	v_mul_f32_e32 v38, 0x3f3d2fb0, v55
	v_fmamk_f32 v61, v60, 0xbf2c7751, v38
	s_delay_alu instid0(VALU_DEP_1) | instskip(SKIP_4) | instid1(VALU_DEP_3)
	v_dual_fmac_f32 v38, 0x3f2c7751, v60 :: v_dual_add_f32 v53, v61, v53
	v_fmamk_f32 v61, v60, 0x3f65296c, v62
	v_fmac_f32_e32 v62, 0xbf65296c, v60
	v_fmamk_f32 v63, v60, 0xbf06c442, v59
	v_fmac_f32_e32 v59, 0x3f06c442, v60
	v_dual_add_f32 v57, v61, v57 :: v_dual_add_f32 v36, v62, v36
	s_delay_alu instid0(VALU_DEP_3) | instskip(NEXT) | instid1(VALU_DEP_3)
	v_add_f32_e32 v33, v63, v33
	v_dual_add_f32 v34, v59, v34 :: v_dual_mul_f32 v59, 0xbf7ba420, v55
	s_delay_alu instid0(VALU_DEP_1) | instskip(NEXT) | instid1(VALU_DEP_1)
	v_fmamk_f32 v63, v60, 0x3e3c28d5, v59
	v_dual_add_f32 v58, v63, v58 :: v_dual_sub_f32 v63, v9, v15
	v_add_f32_e32 v31, v38, v31
	v_mul_f32_e32 v38, 0x3dbcf732, v55
	s_delay_alu instid0(VALU_DEP_1) | instskip(SKIP_1) | instid1(VALU_DEP_2)
	v_fmamk_f32 v61, v60, 0xbf7ee86f, v38
	v_fmac_f32_e32 v38, 0x3f7ee86f, v60
	v_dual_add_f32 v54, v61, v54 :: v_dual_fmac_f32 v59, 0xbe3c28d5, v60
	s_delay_alu instid0(VALU_DEP_2) | instskip(NEXT) | instid1(VALU_DEP_2)
	v_dual_add_f32 v35, v38, v35 :: v_dual_add_f32 v38, v8, v14
	v_add_f32_e32 v37, v59, v37
	v_mul_f32_e32 v59, 0x3f6eb680, v55
	s_delay_alu instid0(VALU_DEP_3) | instskip(NEXT) | instid1(VALU_DEP_2)
	v_dual_mul_f32 v55, 0xbf1a4643, v55 :: v_dual_mul_f32 v64, 0xbf1a4643, v38
	v_fmamk_f32 v61, v60, 0x3eb8f4ab, v59
	v_fmac_f32_e32 v59, 0xbeb8f4ab, v60
	s_delay_alu instid0(VALU_DEP_3) | instskip(SKIP_1) | instid1(VALU_DEP_3)
	v_fmamk_f32 v62, v60, 0x3f4c4adb, v55
	v_fmac_f32_e32 v55, 0xbf4c4adb, v60
	v_dual_mul_f32 v60, 0xbe8c1d8e, v38 :: v_dual_add_f32 v39, v59, v39
	s_delay_alu instid0(VALU_DEP_3) | instskip(SKIP_1) | instid1(VALU_DEP_4)
	v_dual_fmamk_f32 v59, v63, 0x3f4c4adb, v64 :: v_dual_add_f32 v32, v62, v32
	v_fmac_f32_e32 v64, 0xbf4c4adb, v63
	v_dual_mul_f32 v62, 0xbf59a7d5, v38 :: v_dual_add_f32 v27, v55, v27
	s_delay_alu instid0(VALU_DEP_3) | instskip(SKIP_2) | instid1(VALU_DEP_2)
	v_add_f32_e32 v30, v59, v30
	v_fmamk_f32 v59, v63, 0xbf763a35, v60
	v_fmac_f32_e32 v60, 0x3f763a35, v63
	v_dual_add_f32 v26, v64, v26 :: v_dual_add_f32 v33, v59, v33
	s_delay_alu instid0(VALU_DEP_2) | instskip(NEXT) | instid1(VALU_DEP_1)
	v_dual_add_f32 v34, v60, v34 :: v_dual_fmamk_f32 v59, v63, 0x3f06c442, v62
	v_dual_mul_f32 v60, 0x3dbcf732, v38 :: v_dual_add_f32 v57, v59, v57
	s_delay_alu instid0(VALU_DEP_1) | instskip(SKIP_1) | instid1(VALU_DEP_2)
	v_fmamk_f32 v59, v63, 0xbf7ee86f, v60
	v_fmac_f32_e32 v60, 0x3f7ee86f, v63
	v_add_f32_e32 v58, v59, v58
	v_dual_mul_f32 v59, 0xbf7ba420, v38 :: v_dual_add_f32 v56, v61, v56
	s_delay_alu instid0(VALU_DEP_1) | instskip(SKIP_1) | instid1(VALU_DEP_2)
	v_dual_add_f32 v37, v60, v37 :: v_dual_fmamk_f32 v60, v63, 0x3e3c28d5, v59
	v_mul_f32_e32 v55, 0x3f6eb680, v38
	v_dual_fmac_f32 v59, 0xbe3c28d5, v63 :: v_dual_add_f32 v56, v60, v56
	s_delay_alu instid0(VALU_DEP_2) | instskip(SKIP_1) | instid1(VALU_DEP_3)
	v_fmamk_f32 v61, v63, 0x3eb8f4ab, v55
	v_fmac_f32_e32 v55, 0xbeb8f4ab, v63
	v_add_f32_e32 v39, v59, v39
	s_delay_alu instid0(VALU_DEP_2) | instskip(SKIP_2) | instid1(VALU_DEP_1)
	v_add_f32_e32 v31, v55, v31
	v_mul_f32_e32 v55, 0x3f3d2fb0, v38
	v_mul_f32_e32 v38, 0x3ee437d1, v38
	v_fmamk_f32 v64, v63, 0xbf65296c, v38
	v_fmac_f32_e32 v38, 0x3f65296c, v63
	s_delay_alu instid0(VALU_DEP_2) | instskip(SKIP_2) | instid1(VALU_DEP_4)
	v_dual_add_f32 v32, v64, v32 :: v_dual_add_f32 v53, v61, v53
	v_fmamk_f32 v61, v63, 0x3f2c7751, v55
	v_fmac_f32_e32 v55, 0xbf2c7751, v63
	v_add_f32_e32 v27, v38, v27
	v_mad_u32_u24 v64, 0x44, v49, 0
	s_delay_alu instid0(VALU_DEP_3) | instskip(SKIP_1) | instid1(VALU_DEP_1)
	v_dual_add_f32 v54, v61, v54 :: v_dual_add_f32 v35, v55, v35
	v_dual_fmac_f32 v62, 0xbf06c442, v63 :: v_dual_add_f32 v55, v2, v10
	v_dual_sub_f32 v61, v3, v11 :: v_dual_add_f32 v36, v62, v36
	s_delay_alu instid0(VALU_DEP_2) | instskip(SKIP_1) | instid1(VALU_DEP_2)
	v_mul_f32_e32 v62, 0xbf59a7d5, v55
	v_mul_f32_e32 v38, 0x3dbcf732, v55
	v_fmamk_f32 v59, v61, 0x3f06c442, v62
	v_fmac_f32_e32 v62, 0xbf06c442, v61
	s_delay_alu instid0(VALU_DEP_2) | instskip(NEXT) | instid1(VALU_DEP_2)
	v_add_f32_e32 v30, v59, v30
	v_add_f32_e32 v26, v62, v26
	v_mul_f32_e32 v60, 0x3ee437d1, v55
	v_mul_f32_e32 v62, 0xbf1a4643, v55
	s_delay_alu instid0(VALU_DEP_2) | instskip(SKIP_1) | instid1(VALU_DEP_2)
	v_fmamk_f32 v59, v61, 0xbf65296c, v60
	v_fmac_f32_e32 v60, 0x3f65296c, v61
	v_add_f32_e32 v33, v59, v33
	v_fmamk_f32 v63, v61, 0x3f7ee86f, v38
	v_fmac_f32_e32 v38, 0xbf7ee86f, v61
	v_fmamk_f32 v59, v61, 0xbf4c4adb, v62
	v_fmac_f32_e32 v62, 0x3f4c4adb, v61
	s_delay_alu instid0(VALU_DEP_4) | instskip(NEXT) | instid1(VALU_DEP_3)
	v_add_f32_e32 v53, v63, v53
	v_dual_add_f32 v31, v38, v31 :: v_dual_add_f32 v38, v59, v57
	s_delay_alu instid0(VALU_DEP_3) | instskip(NEXT) | instid1(VALU_DEP_1)
	v_dual_mul_f32 v57, 0xbf7ba420, v55 :: v_dual_add_f32 v36, v62, v36
	v_fmamk_f32 v63, v61, 0x3e3c28d5, v57
	s_delay_alu instid0(VALU_DEP_1) | instskip(SKIP_2) | instid1(VALU_DEP_3)
	v_dual_fmac_f32 v57, 0xbe3c28d5, v61 :: v_dual_add_f32 v54, v63, v54
	v_dual_sub_f32 v63, v5, v7 :: v_dual_add_f32 v34, v60, v34
	v_mul_f32_e32 v60, 0x3f6eb680, v55
	v_add_f32_e32 v35, v57, v35
	s_delay_alu instid0(VALU_DEP_2) | instskip(SKIP_1) | instid1(VALU_DEP_1)
	v_fmamk_f32 v59, v61, 0x3eb8f4ab, v60
	v_fmac_f32_e32 v60, 0xbeb8f4ab, v61
	v_dual_add_f32 v58, v59, v58 :: v_dual_add_f32 v37, v60, v37
	v_add_f32_e32 v60, v4, v6
	v_mul_f32_e32 v62, 0x3f3d2fb0, v55
	v_mul_f32_e32 v55, 0xbe8c1d8e, v55
	s_delay_alu instid0(VALU_DEP_3) | instskip(NEXT) | instid1(VALU_DEP_3)
	v_mul_f32_e32 v57, 0xbf7ba420, v60
	v_fmamk_f32 v59, v61, 0xbf2c7751, v62
	s_delay_alu instid0(VALU_DEP_1) | instskip(NEXT) | instid1(VALU_DEP_4)
	v_dual_fmac_f32 v62, 0x3f2c7751, v61 :: v_dual_add_f32 v59, v59, v56
	v_fmamk_f32 v56, v61, 0x3f763a35, v55
	v_fmac_f32_e32 v55, 0xbf763a35, v61
	v_mul_f32_e32 v61, 0x3f6eb680, v60
	s_delay_alu instid0(VALU_DEP_4) | instskip(NEXT) | instid1(VALU_DEP_4)
	v_dual_add_f32 v39, v62, v39 :: v_dual_mul_f32 v62, 0xbf59a7d5, v60
	v_add_f32_e32 v32, v56, v32
	v_fmamk_f32 v56, v63, 0x3e3c28d5, v57
	v_add_f32_e32 v27, v55, v27
	v_fmac_f32_e32 v57, 0xbe3c28d5, v63
	v_fmamk_f32 v55, v63, 0xbeb8f4ab, v61
	v_fmac_f32_e32 v61, 0x3eb8f4ab, v63
	s_delay_alu instid0(VALU_DEP_2) | instskip(SKIP_2) | instid1(VALU_DEP_2)
	v_dual_add_f32 v57, v57, v26 :: v_dual_add_f32 v26, v55, v33
	v_fmamk_f32 v33, v63, 0x3f06c442, v62
	v_mul_f32_e32 v55, 0x3f3d2fb0, v60
	v_dual_fmac_f32 v62, 0xbf06c442, v63 :: v_dual_add_f32 v33, v33, v53
	s_delay_alu instid0(VALU_DEP_2) | instskip(SKIP_1) | instid1(VALU_DEP_3)
	v_fmamk_f32 v53, v63, 0xbf2c7751, v55
	v_fmac_f32_e32 v55, 0x3f2c7751, v63
	v_dual_add_f32 v31, v62, v31 :: v_dual_mul_f32 v62, 0x3ee437d1, v60
	s_delay_alu instid0(VALU_DEP_3) | instskip(NEXT) | instid1(VALU_DEP_3)
	v_add_f32_e32 v38, v53, v38
	v_add_f32_e32 v36, v55, v36
	s_delay_alu instid0(VALU_DEP_3) | instskip(SKIP_1) | instid1(VALU_DEP_1)
	v_fmamk_f32 v55, v63, 0xbf65296c, v62
	v_fmac_f32_e32 v62, 0x3f65296c, v63
	v_dual_add_f32 v54, v55, v54 :: v_dual_add_f32 v35, v62, v35
	v_add_f32_e32 v30, v56, v30
	v_add_f32_e32 v56, v61, v34
	v_mul_f32_e32 v34, 0xbf1a4643, v60
                                        ; implicit-def: $vgpr62
	s_delay_alu instid0(VALU_DEP_1) | instskip(NEXT) | instid1(VALU_DEP_1)
	v_fmamk_f32 v61, v63, 0x3f4c4adb, v34
	v_dual_add_f32 v53, v61, v58 :: v_dual_mul_f32 v58, 0xbe8c1d8e, v60
	v_lshlrev_b32_e32 v61, 6, v49
	s_delay_alu instid0(VALU_DEP_2) | instskip(SKIP_1) | instid1(VALU_DEP_2)
	v_fmamk_f32 v55, v63, 0x3f763a35, v58
	v_fmac_f32_e32 v58, 0xbf763a35, v63
	v_add_f32_e32 v55, v55, v59
	s_delay_alu instid0(VALU_DEP_2)
	v_add_f32_e32 v39, v58, v39
	v_fmac_f32_e32 v34, 0xbf4c4adb, v63
	ds_store_2addr_b32 v64, v16, v30 offset1:1
	ds_store_2addr_b32 v64, v26, v33 offset0:2 offset1:3
	ds_store_2addr_b32 v64, v38, v53 offset0:4 offset1:5
	;; [unrolled: 1-line block ×3, first 2 shown]
	v_sub_nc_u32_e32 v16, v64, v61
	v_lshl_add_u32 v54, v52, 2, 0
	v_lshl_add_u32 v55, v51, 2, 0
	v_dual_add_f32 v34, v34, v37 :: v_dual_mul_f32 v37, 0x3dbcf732, v60
	s_delay_alu instid0(VALU_DEP_4) | instskip(SKIP_2) | instid1(VALU_DEP_4)
	v_add_nc_u32_e32 v26, 0x400, v16
	v_add_nc_u32_e32 v30, 0xc00, v16
	v_lshl_add_u32 v53, v50, 2, 0
	v_fmamk_f32 v60, v63, 0xbf7ee86f, v37
	v_fmac_f32_e32 v37, 0x3f7ee86f, v63
                                        ; implicit-def: $vgpr63
	s_delay_alu instid0(VALU_DEP_1)
	v_dual_add_f32 v32, v60, v32 :: v_dual_add_f32 v27, v37, v27
	ds_store_2addr_b32 v64, v32, v27 offset0:8 offset1:9
	ds_store_2addr_b32 v64, v39, v35 offset0:10 offset1:11
	;; [unrolled: 1-line block ×4, first 2 shown]
	ds_store_b32 v64, v57 offset:64
	v_add_nc_u32_e32 v31, 0x1000, v16
	v_add_nc_u32_e32 v27, 0x600, v16
	;; [unrolled: 1-line block ×4, first 2 shown]
	global_wb scope:SCOPE_SE
	s_wait_dscnt 0x0
	s_barrier_signal -1
	s_barrier_wait -1
	global_inv scope:SCOPE_SE
	ds_load_2addr_b32 v[32:33], v26 offset0:33 offset1:118
	ds_load_2addr_b32 v[26:27], v27 offset0:75 offset1:194
	;; [unrolled: 1-line block ×4, first 2 shown]
	ds_load_b32 v58, v54
	ds_load_2addr_b32 v[38:39], v36 offset0:151 offset1:236
	ds_load_2addr_b32 v[36:37], v37 offset0:89 offset1:174
	ds_load_b32 v60, v16
	ds_load_b32 v59, v55
	v_sub_nc_u32_e32 v16, 0, v61
                                        ; implicit-def: $vgpr61
	s_delay_alu instid0(VALU_DEP_1)
	v_add_nc_u32_e32 v16, v64, v16
	s_and_saveexec_b32 s1, s0
	s_cbranch_execz .LBB0_15
; %bb.14:
	ds_load_b32 v57, v16 offset:2176
	ds_load_b32 v63, v16 offset:3332
	;; [unrolled: 1-line block ×3, first 2 shown]
	ds_load_b32 v56, v53
	ds_load_b32 v61, v16 offset:5644
.LBB0_15:
	s_wait_alu 0xfffe
	s_or_b32 exec_lo, exec_lo, s1
	v_dual_add_f32 v65, v41, v17 :: v_dual_sub_f32 v40, v40, v44
	v_add_f32_e32 v44, v25, v47
	v_dual_add_f32 v41, v41, v45 :: v_dual_sub_f32 v24, v24, v46
	s_delay_alu instid0(VALU_DEP_3)
	v_dual_add_f32 v25, v25, v65 :: v_dual_mul_f32 v46, 0xbeb8f4ab, v40
	v_mul_f32_e32 v66, 0xbf65296c, v40
	v_mul_f32_e32 v65, 0xbf2c7751, v40
	global_wb scope:SCOPE_SE
	s_wait_dscnt 0x0
	v_dual_add_f32 v25, v19, v25 :: v_dual_mul_f32 v68, 0xbf763a35, v40
	v_fmamk_f32 v76, v41, 0x3f6eb680, v46
	v_mul_f32_e32 v67, 0xbf7ee86f, v40
	v_fma_f32 v46, 0x3f6eb680, v41, -v46
	s_delay_alu instid0(VALU_DEP_4) | instskip(SKIP_2) | instid1(VALU_DEP_3)
	v_dual_add_f32 v25, v21, v25 :: v_dual_mul_f32 v70, 0xbf06c442, v40
	v_mul_f32_e32 v69, 0xbf4c4adb, v40
	s_barrier_signal -1
	v_add_f32_e32 v46, v46, v17
	s_delay_alu instid0(VALU_DEP_3)
	v_dual_add_f32 v25, v13, v25 :: v_dual_mul_f32 v40, 0xbe3c28d5, v40
	s_barrier_wait -1
	global_inv scope:SCOPE_SE
	v_dual_sub_f32 v18, v18, v42 :: v_dual_add_f32 v25, v9, v25
	v_dual_mul_f32 v72, 0xbf7ee86f, v24 :: v_dual_add_f32 v19, v19, v43
	v_dual_sub_f32 v20, v20, v28 :: v_dual_add_f32 v21, v21, v29
	s_delay_alu instid0(VALU_DEP_3) | instskip(NEXT) | instid1(VALU_DEP_3)
	v_dual_add_f32 v25, v3, v25 :: v_dual_mul_f32 v74, 0xbe3c28d5, v24
	v_fmamk_f32 v84, v44, 0x3dbcf732, v72
	v_fma_f32 v72, 0x3dbcf732, v44, -v72
	s_delay_alu instid0(VALU_DEP_3) | instskip(SKIP_2) | instid1(VALU_DEP_3)
	v_dual_sub_f32 v12, v12, v22 :: v_dual_add_f32 v25, v5, v25
	v_dual_sub_f32 v8, v8, v14 :: v_dual_add_f32 v9, v9, v15
	;; [unrolled: 1-line block ×3, first 2 shown]
	v_dual_add_f32 v25, v7, v25 :: v_dual_fmamk_f32 v78, v41, 0x3ee437d1, v66
	v_fma_f32 v66, 0x3ee437d1, v41, -v66
	v_dual_mul_f32 v73, 0xbf4c4adb, v24 :: v_dual_add_f32 v76, v76, v17
	s_delay_alu instid0(VALU_DEP_3) | instskip(NEXT) | instid1(VALU_DEP_4)
	v_dual_add_f32 v25, v11, v25 :: v_dual_fmamk_f32 v80, v41, 0xbe8c1d8e, v68
	v_dual_mul_f32 v71, 0xbf2c7751, v24 :: v_dual_add_f32 v78, v78, v17
	v_fmamk_f32 v79, v41, 0x3dbcf732, v67
	s_delay_alu instid0(VALU_DEP_3) | instskip(NEXT) | instid1(VALU_DEP_4)
	v_dual_add_f32 v25, v15, v25 :: v_dual_fmamk_f32 v82, v41, 0xbf59a7d5, v70
	v_dual_mul_f32 v75, 0x3f06c442, v24 :: v_dual_add_f32 v80, v80, v17
	v_fma_f32 v67, 0x3dbcf732, v41, -v67
	s_delay_alu instid0(VALU_DEP_3) | instskip(NEXT) | instid1(VALU_DEP_4)
	v_add_f32_e32 v25, v23, v25
	v_dual_fmamk_f32 v81, v41, 0xbf1a4643, v69 :: v_dual_add_f32 v82, v82, v17
	v_fma_f32 v68, 0xbe8c1d8e, v41, -v68
	v_fmamk_f32 v77, v41, 0x3f3d2fb0, v65
	s_delay_alu instid0(VALU_DEP_4)
	v_add_f32_e32 v25, v29, v25
	v_fma_f32 v65, 0x3f3d2fb0, v41, -v65
	v_fma_f32 v69, 0xbf1a4643, v41, -v69
	;; [unrolled: 1-line block ×3, first 2 shown]
	v_fmamk_f32 v83, v41, 0xbf7ba420, v40
	v_add_f32_e32 v25, v43, v25
	v_fma_f32 v40, 0xbf7ba420, v41, -v40
	v_dual_add_f32 v66, v66, v17 :: v_dual_fmamk_f32 v85, v44, 0xbf1a4643, v73
	v_fma_f32 v73, 0xbf1a4643, v44, -v73
	v_fmamk_f32 v41, v44, 0x3f3d2fb0, v71
	v_fma_f32 v71, 0x3f3d2fb0, v44, -v71
	v_add_f32_e32 v25, v47, v25
	v_add_f32_e32 v79, v79, v17
	;; [unrolled: 1-line block ×12, first 2 shown]
	v_dual_fmamk_f32 v45, v44, 0xbf7ba420, v74 :: v_dual_add_f32 v66, v73, v66
	v_dual_add_f32 v40, v41, v76 :: v_dual_add_f32 v41, v71, v46
	v_fma_f32 v71, 0xbf7ba420, v44, -v74
	v_fma_f32 v74, 0xbf59a7d5, v44, -v75
	v_fmamk_f32 v73, v44, 0xbf59a7d5, v75
	v_mul_f32_e32 v75, 0x3f763a35, v18
	s_delay_alu instid0(VALU_DEP_3)
	v_dual_mul_f32 v11, 0xbf06c442, v2 :: v_dual_add_f32 v68, v74, v68
	v_mul_f32_e32 v43, 0xbf65296c, v18
	v_dual_add_f32 v47, v72, v65 :: v_dual_mul_f32 v72, 0x3f763a35, v24
	v_add_f32_e32 v46, v84, v77
	v_mul_f32_e32 v74, 0x3f65296c, v24
	v_dual_mul_f32 v24, 0x3eb8f4ab, v24 :: v_dual_add_f32 v67, v71, v67
	s_delay_alu instid0(VALU_DEP_4) | instskip(SKIP_1) | instid1(VALU_DEP_4)
	v_fmamk_f32 v71, v44, 0xbe8c1d8e, v72
	v_fma_f32 v72, 0xbe8c1d8e, v44, -v72
	v_fmamk_f32 v42, v44, 0x3ee437d1, v74
	s_delay_alu instid0(VALU_DEP_2) | instskip(SKIP_4) | instid1(VALU_DEP_4)
	v_add_f32_e32 v69, v72, v69
	v_fma_f32 v72, 0x3ee437d1, v44, -v74
	v_fmamk_f32 v74, v44, 0x3f6eb680, v24
	v_fma_f32 v24, 0x3f6eb680, v44, -v24
	v_add_f32_e32 v42, v42, v82
	v_add_f32_e32 v44, v72, v70
	s_delay_alu instid0(VALU_DEP_4) | instskip(NEXT) | instid1(VALU_DEP_4)
	v_add_f32_e32 v70, v74, v83
	v_dual_fmamk_f32 v72, v19, 0x3ee437d1, v43 :: v_dual_add_f32 v17, v24, v17
	v_fma_f32 v24, 0x3ee437d1, v19, -v43
	v_mul_f32_e32 v43, 0x3e3c28d5, v18
	v_mul_f32_e32 v74, 0xbf4c4adb, v18
	s_delay_alu instid0(VALU_DEP_4) | instskip(NEXT) | instid1(VALU_DEP_3)
	v_dual_add_f32 v65, v85, v78 :: v_dual_add_f32 v40, v72, v40
	v_dual_add_f32 v24, v24, v41 :: v_dual_fmamk_f32 v41, v19, 0xbf7ba420, v43
	v_fma_f32 v43, 0xbf7ba420, v19, -v43
	s_delay_alu instid0(VALU_DEP_2) | instskip(NEXT) | instid1(VALU_DEP_2)
	v_add_f32_e32 v41, v41, v65
	v_add_f32_e32 v43, v43, v66
	v_mul_f32_e32 v66, 0xbeb8f4ab, v18
	v_fmamk_f32 v72, v19, 0xbf1a4643, v74
	v_fma_f32 v74, 0xbf1a4643, v19, -v74
	s_delay_alu instid0(VALU_DEP_2) | instskip(NEXT) | instid1(VALU_DEP_2)
	v_dual_fmamk_f32 v65, v19, 0xbe8c1d8e, v75 :: v_dual_add_f32 v46, v72, v46
	v_add_f32_e32 v47, v74, v47
	v_fma_f32 v74, 0xbe8c1d8e, v19, -v75
	s_delay_alu instid0(VALU_DEP_1) | instskip(SKIP_2) | instid1(VALU_DEP_1)
	v_dual_mul_f32 v72, 0x3f2c7751, v18 :: v_dual_add_f32 v67, v74, v67
	v_fmamk_f32 v74, v19, 0x3f6eb680, v66
	v_fma_f32 v66, 0x3f6eb680, v19, -v66
	v_dual_add_f32 v66, v66, v69 :: v_dual_add_f32 v45, v45, v79
	v_mul_f32_e32 v29, 0xbf7ee86f, v20
	s_delay_alu instid0(VALU_DEP_2) | instskip(SKIP_2) | instid1(VALU_DEP_1)
	v_add_f32_e32 v45, v65, v45
	v_fmamk_f32 v65, v19, 0x3f3d2fb0, v72
	v_fma_f32 v72, 0x3f3d2fb0, v19, -v72
	v_dual_add_f32 v68, v72, v68 :: v_dual_mul_f32 v75, 0xbf7ee86f, v18
	v_mul_f32_e32 v18, 0xbf06c442, v18
	s_delay_alu instid0(VALU_DEP_2) | instskip(NEXT) | instid1(VALU_DEP_2)
	v_fmamk_f32 v72, v19, 0x3dbcf732, v75
	v_fmamk_f32 v69, v19, 0xbf59a7d5, v18
	v_fma_f32 v28, 0x3dbcf732, v19, -v75
	v_fma_f32 v18, 0xbf59a7d5, v19, -v18
	s_delay_alu instid0(VALU_DEP_4) | instskip(NEXT) | instid1(VALU_DEP_4)
	v_add_f32_e32 v42, v72, v42
	v_add_f32_e32 v19, v69, v70
	v_fmamk_f32 v69, v21, 0x3dbcf732, v29
	v_fma_f32 v29, 0x3dbcf732, v21, -v29
	v_add_f32_e32 v28, v28, v44
	v_dual_mul_f32 v44, 0xbe3c28d5, v20 :: v_dual_add_f32 v17, v18, v17
	v_mul_f32_e32 v18, 0x3f763a35, v20
	s_delay_alu instid0(VALU_DEP_4) | instskip(NEXT) | instid1(VALU_DEP_3)
	v_dual_add_f32 v24, v29, v24 :: v_dual_add_f32 v71, v71, v81
	v_fmamk_f32 v70, v21, 0xbf7ba420, v44
	v_fma_f32 v29, 0xbf7ba420, v21, -v44
	s_delay_alu instid0(VALU_DEP_4) | instskip(SKIP_1) | instid1(VALU_DEP_4)
	v_fmamk_f32 v44, v21, 0xbe8c1d8e, v18
	v_add_f32_e32 v40, v69, v40
	v_dual_add_f32 v73, v73, v80 :: v_dual_add_f32 v46, v70, v46
	v_fma_f32 v18, 0xbe8c1d8e, v21, -v18
	s_delay_alu instid0(VALU_DEP_4) | instskip(SKIP_1) | instid1(VALU_DEP_3)
	v_dual_add_f32 v41, v44, v41 :: v_dual_mul_f32 v44, 0xbf65296c, v20
	v_add_f32_e32 v71, v74, v71
	v_dual_mul_f32 v69, 0x3eb8f4ab, v20 :: v_dual_add_f32 v18, v18, v43
	v_add_f32_e32 v65, v65, v73
	s_delay_alu instid0(VALU_DEP_4)
	v_fmamk_f32 v70, v21, 0x3ee437d1, v44
	v_fma_f32 v44, 0x3ee437d1, v21, -v44
	v_add_f32_e32 v29, v29, v47
	v_fmamk_f32 v47, v21, 0x3f6eb680, v69
	v_fma_f32 v43, 0x3f6eb680, v21, -v69
	v_mul_f32_e32 v69, 0xbf06c442, v20
	v_add_f32_e32 v44, v44, v68
	v_mul_f32_e32 v68, 0x3f4c4adb, v20
	v_dual_mul_f32 v20, 0x3f2c7751, v20 :: v_dual_add_f32 v13, v13, v23
	v_mul_f32_e32 v23, 0xbf763a35, v12
	s_delay_alu instid0(VALU_DEP_3) | instskip(NEXT) | instid1(VALU_DEP_1)
	v_fmamk_f32 v22, v21, 0xbf1a4643, v68
	v_add_f32_e32 v22, v22, v42
	v_dual_mul_f32 v42, 0x3f06c442, v12 :: v_dual_add_f32 v43, v43, v67
	v_fma_f32 v67, 0xbf59a7d5, v21, -v69
	s_delay_alu instid0(VALU_DEP_1) | instskip(SKIP_3) | instid1(VALU_DEP_1)
	v_add_f32_e32 v66, v67, v66
	v_fma_f32 v67, 0xbf1a4643, v21, -v68
	v_fmamk_f32 v68, v21, 0x3f3d2fb0, v20
	v_fma_f32 v20, 0x3f3d2fb0, v21, -v20
	v_add_f32_e32 v17, v20, v17
	v_fma_f32 v20, 0xbe8c1d8e, v13, -v23
	s_delay_alu instid0(VALU_DEP_1)
	v_dual_add_f32 v20, v20, v24 :: v_dual_add_f32 v45, v47, v45
	v_fmamk_f32 v47, v21, 0xbf59a7d5, v69
	v_dual_add_f32 v21, v67, v28 :: v_dual_fmamk_f32 v28, v13, 0xbe8c1d8e, v23
	v_mul_f32_e32 v23, 0x3f2c7751, v12
	v_add_f32_e32 v65, v70, v65
	v_mul_f32_e32 v67, 0xbf65296c, v12
	s_delay_alu instid0(VALU_DEP_4) | instskip(SKIP_4) | instid1(VALU_DEP_3)
	v_add_f32_e32 v28, v28, v40
	v_fmamk_f32 v40, v13, 0xbf59a7d5, v42
	v_fma_f32 v42, 0xbf59a7d5, v13, -v42
	v_fmamk_f32 v24, v13, 0x3f3d2fb0, v23
	v_fma_f32 v23, 0x3f3d2fb0, v13, -v23
	v_dual_add_f32 v40, v40, v46 :: v_dual_add_f32 v29, v42, v29
	s_delay_alu instid0(VALU_DEP_3) | instskip(SKIP_1) | instid1(VALU_DEP_4)
	v_dual_add_f32 v24, v24, v41 :: v_dual_fmamk_f32 v41, v13, 0x3ee437d1, v67
	v_mul_f32_e32 v42, 0xbe3c28d5, v12
	v_add_f32_e32 v18, v23, v18
	v_add_f32_e32 v47, v47, v71
	v_mul_f32_e32 v23, 0x3f7ee86f, v12
	v_add_f32_e32 v41, v41, v45
	v_fmamk_f32 v45, v13, 0xbf7ba420, v42
	v_fma_f32 v42, 0xbf7ba420, v13, -v42
	s_delay_alu instid0(VALU_DEP_1) | instskip(SKIP_2) | instid1(VALU_DEP_2)
	v_add_f32_e32 v42, v42, v44
	v_fma_f32 v46, 0x3ee437d1, v13, -v67
	v_mul_f32_e32 v15, 0xbf4c4adb, v8
	v_dual_add_f32 v43, v46, v43 :: v_dual_fmamk_f32 v46, v13, 0x3dbcf732, v23
	v_mul_f32_e32 v67, 0xbeb8f4ab, v12
	v_dual_add_f32 v19, v68, v19 :: v_dual_mul_f32 v12, 0xbf4c4adb, v12
	s_delay_alu instid0(VALU_DEP_3) | instskip(NEXT) | instid1(VALU_DEP_3)
	v_add_f32_e32 v44, v46, v47
	v_fmamk_f32 v46, v13, 0x3f6eb680, v67
	v_fma_f32 v14, 0x3f6eb680, v13, -v67
	s_delay_alu instid0(VALU_DEP_2) | instskip(SKIP_2) | instid1(VALU_DEP_4)
	v_add_f32_e32 v22, v46, v22
	v_fmamk_f32 v46, v13, 0xbf1a4643, v12
	v_fma_f32 v12, 0xbf1a4643, v13, -v12
	v_dual_add_f32 v14, v14, v21 :: v_dual_fmamk_f32 v21, v9, 0xbf1a4643, v15
	v_fma_f32 v15, 0xbf1a4643, v9, -v15
	s_delay_alu instid0(VALU_DEP_3)
	v_add_f32_e32 v12, v12, v17
	v_fma_f32 v23, 0x3dbcf732, v13, -v23
	v_add_f32_e32 v13, v46, v19
	v_mul_f32_e32 v19, 0x3f763a35, v8
	v_add_f32_e32 v21, v21, v28
	v_mul_f32_e32 v17, 0xbeb8f4ab, v8
	v_add_f32_e32 v23, v23, v66
	s_delay_alu instid0(VALU_DEP_2) | instskip(NEXT) | instid1(VALU_DEP_1)
	v_dual_add_f32 v15, v15, v20 :: v_dual_fmamk_f32 v20, v9, 0x3f6eb680, v17
	v_add_f32_e32 v20, v20, v24
	v_mul_f32_e32 v24, 0x3f7ee86f, v8
	v_fmamk_f32 v46, v9, 0xbe8c1d8e, v19
	v_add_f32_e32 v45, v45, v65
	v_fma_f32 v19, 0xbe8c1d8e, v9, -v19
	v_fma_f32 v17, 0x3f6eb680, v9, -v17
	s_delay_alu instid0(VALU_DEP_4) | instskip(NEXT) | instid1(VALU_DEP_3)
	v_add_f32_e32 v28, v46, v40
	v_dual_mul_f32 v40, 0xbf06c442, v8 :: v_dual_add_f32 v19, v19, v29
	s_delay_alu instid0(VALU_DEP_3) | instskip(SKIP_2) | instid1(VALU_DEP_4)
	v_add_f32_e32 v17, v17, v18
	v_fmamk_f32 v46, v9, 0x3dbcf732, v24
	v_fma_f32 v24, 0x3dbcf732, v9, -v24
	v_fmamk_f32 v29, v9, 0xbf59a7d5, v40
	v_fma_f32 v18, 0xbf59a7d5, v9, -v40
	v_mul_f32_e32 v40, 0xbf2c7751, v8
	s_delay_alu instid0(VALU_DEP_3) | instskip(SKIP_2) | instid1(VALU_DEP_4)
	v_dual_add_f32 v24, v24, v42 :: v_dual_add_f32 v29, v29, v41
	v_mul_f32_e32 v42, 0xbe3c28d5, v8
	v_mul_f32_e32 v8, 0x3f65296c, v8
	v_fmamk_f32 v41, v9, 0x3f3d2fb0, v40
	v_fma_f32 v40, 0x3f3d2fb0, v9, -v40
	v_add_f32_e32 v18, v18, v43
	v_dual_add_f32 v43, v46, v45 :: v_dual_fmamk_f32 v10, v9, 0xbf7ba420, v42
	s_delay_alu instid0(VALU_DEP_3)
	v_add_f32_e32 v23, v40, v23
	v_fma_f32 v40, 0xbf7ba420, v9, -v42
	v_fmamk_f32 v42, v9, 0x3ee437d1, v8
	v_fma_f32 v8, 0x3ee437d1, v9, -v8
	v_add_f32_e32 v10, v10, v22
	v_mul_f32_e32 v22, 0x3f65296c, v2
	s_delay_alu instid0(VALU_DEP_3) | instskip(SKIP_4) | instid1(VALU_DEP_3)
	v_add_f32_e32 v8, v8, v12
	v_mul_f32_e32 v12, 0xbf7ee86f, v2
	v_dual_add_f32 v9, v40, v14 :: v_dual_fmamk_f32 v14, v3, 0xbf59a7d5, v11
	v_mul_f32_e32 v40, 0x3f4c4adb, v2
	v_sub_f32_e32 v4, v4, v6
	v_dual_add_f32 v14, v14, v21 :: v_dual_fmamk_f32 v21, v3, 0x3ee437d1, v22
	v_fma_f32 v22, 0x3ee437d1, v3, -v22
	s_delay_alu instid0(VALU_DEP_2) | instskip(SKIP_1) | instid1(VALU_DEP_3)
	v_add_f32_e32 v28, v21, v28
	v_fma_f32 v11, 0xbf59a7d5, v3, -v11
	v_add_f32_e32 v19, v22, v19
	v_fma_f32 v22, 0xbf1a4643, v3, -v40
	s_delay_alu instid0(VALU_DEP_3) | instskip(SKIP_2) | instid1(VALU_DEP_4)
	v_add_f32_e32 v11, v11, v15
	v_fmamk_f32 v15, v3, 0x3dbcf732, v12
	v_fma_f32 v12, 0x3dbcf732, v3, -v12
	v_dual_add_f32 v18, v22, v18 :: v_dual_add_f32 v5, v5, v7
	s_delay_alu instid0(VALU_DEP_2) | instskip(SKIP_2) | instid1(VALU_DEP_2)
	v_dual_add_f32 v12, v12, v17 :: v_dual_add_f32 v41, v41, v44
	v_mul_f32_e32 v17, 0xbe3c28d5, v2
	v_add_f32_e32 v13, v42, v13
                                        ; implicit-def: $vgpr44
	v_fmamk_f32 v22, v3, 0xbf7ba420, v17
	v_add_f32_e32 v15, v15, v20
	v_fmamk_f32 v20, v3, 0xbf1a4643, v40
	v_mul_f32_e32 v40, 0x3f2c7751, v2
	s_delay_alu instid0(VALU_DEP_4) | instskip(NEXT) | instid1(VALU_DEP_3)
	v_add_f32_e32 v22, v22, v41
	v_add_f32_e32 v20, v20, v29
	s_delay_alu instid0(VALU_DEP_3) | instskip(SKIP_2) | instid1(VALU_DEP_2)
	v_fma_f32 v6, 0x3f3d2fb0, v3, -v40
	v_mul_f32_e32 v21, 0xbeb8f4ab, v2
	v_mul_f32_e32 v2, 0xbf763a35, v2
	v_dual_add_f32 v6, v6, v9 :: v_dual_fmamk_f32 v29, v3, 0x3f6eb680, v21
	v_fma_f32 v21, 0x3f6eb680, v3, -v21
	s_delay_alu instid0(VALU_DEP_1) | instskip(NEXT) | instid1(VALU_DEP_1)
	v_dual_add_f32 v24, v21, v24 :: v_dual_fmamk_f32 v21, v3, 0x3f3d2fb0, v40
	v_add_f32_e32 v10, v21, v10
	s_delay_alu instid0(VALU_DEP_4) | instskip(SKIP_4) | instid1(VALU_DEP_3)
	v_add_f32_e32 v29, v29, v43
	v_fmamk_f32 v21, v3, 0xbe8c1d8e, v2
	v_fma_f32 v2, 0xbe8c1d8e, v3, -v2
	v_mul_f32_e32 v7, 0xbe3c28d5, v4
	v_mul_f32_e32 v9, 0x3eb8f4ab, v4
                                        ; implicit-def: $vgpr43
	v_add_f32_e32 v2, v2, v8
	v_fma_f32 v17, 0xbf7ba420, v3, -v17
	v_add_f32_e32 v3, v21, v13
	v_fmamk_f32 v13, v5, 0xbf7ba420, v7
	v_fma_f32 v7, 0xbf7ba420, v5, -v7
	s_delay_alu instid0(VALU_DEP_4) | instskip(SKIP_1) | instid1(VALU_DEP_4)
	v_dual_mul_f32 v8, 0xbf06c442, v4 :: v_dual_add_f32 v17, v17, v23
	v_fmamk_f32 v23, v5, 0x3f6eb680, v9
	v_add_f32_e32 v13, v13, v14
	s_delay_alu instid0(VALU_DEP_4)
	v_add_f32_e32 v21, v7, v11
	v_fma_f32 v7, 0x3f6eb680, v5, -v9
	v_fmamk_f32 v9, v5, 0xbf59a7d5, v8
	v_add_f32_e32 v11, v23, v28
	v_mul_f32_e32 v23, 0x3f2c7751, v4
	v_fma_f32 v8, 0xbf59a7d5, v5, -v8
	v_add_f32_e32 v14, v7, v19
	v_add_f32_e32 v7, v9, v15
	v_mul_f32_e32 v9, 0xbf4c4adb, v4
	v_mul_f32_e32 v19, 0x3f65296c, v4
	v_add_f32_e32 v8, v8, v12
	v_fma_f32 v12, 0x3f3d2fb0, v5, -v23
                                        ; implicit-def: $vgpr28
	s_delay_alu instid0(VALU_DEP_1)
	v_dual_add_f32 v12, v12, v18 :: v_dual_fmamk_f32 v15, v5, 0x3f3d2fb0, v23
	v_fmamk_f32 v23, v5, 0xbf1a4643, v9
	v_fmamk_f32 v18, v5, 0x3ee437d1, v19
	v_fma_f32 v9, 0xbf1a4643, v5, -v9
	v_fma_f32 v19, 0x3ee437d1, v5, -v19
	v_add_f32_e32 v15, v15, v20
	v_dual_add_f32 v20, v23, v29 :: v_dual_mul_f32 v23, 0xbf763a35, v4
	v_mul_f32_e32 v4, 0x3f7ee86f, v4
	v_dual_add_f32 v18, v18, v22 :: v_dual_add_f32 v9, v9, v24
	s_delay_alu instid0(VALU_DEP_3) | instskip(NEXT) | instid1(VALU_DEP_3)
	v_fmamk_f32 v22, v5, 0xbe8c1d8e, v23
	v_fmamk_f32 v24, v5, 0x3dbcf732, v4
	v_fma_f32 v23, 0xbe8c1d8e, v5, -v23
	v_fma_f32 v4, 0x3dbcf732, v5, -v4
	s_delay_alu instid0(VALU_DEP_4) | instskip(NEXT) | instid1(VALU_DEP_3)
	v_dual_add_f32 v5, v19, v17 :: v_dual_add_f32 v10, v22, v10
	v_dual_add_f32 v3, v24, v3 :: v_dual_add_f32 v6, v23, v6
	s_delay_alu instid0(VALU_DEP_3)
	v_add_f32_e32 v2, v4, v2
	ds_store_2addr_b32 v64, v25, v13 offset1:1
	ds_store_2addr_b32 v64, v11, v7 offset0:2 offset1:3
	ds_store_2addr_b32 v64, v15, v20 offset0:4 offset1:5
	;; [unrolled: 1-line block ×7, first 2 shown]
	ds_store_b32 v64, v21 offset:64
	v_add_nc_u32_e32 v8, 0x800, v16
	v_add_nc_u32_e32 v2, 0x400, v16
	;; [unrolled: 1-line block ×6, first 2 shown]
	global_wb scope:SCOPE_SE
	s_wait_dscnt 0x0
	s_barrier_signal -1
	s_barrier_wait -1
	global_inv scope:SCOPE_SE
	ds_load_2addr_b32 v[4:5], v2 offset0:33 offset1:118
	ds_load_2addr_b32 v[2:3], v3 offset0:75 offset1:194
	ds_load_2addr_b32 v[12:13], v6 offset0:99 offset1:184
	ds_load_2addr_b32 v[6:7], v7 offset0:13 offset1:132
	ds_load_b32 v15, v54
	ds_load_2addr_b32 v[10:11], v8 offset0:151 offset1:236
	ds_load_2addr_b32 v[8:9], v9 offset0:89 offset1:174
	ds_load_b32 v18, v16
	ds_load_b32 v17, v55
	s_and_saveexec_b32 s1, s0
	s_cbranch_execz .LBB0_17
; %bb.16:
	ds_load_b32 v21, v16 offset:2176
	ds_load_b32 v44, v16 offset:3332
	;; [unrolled: 1-line block ×3, first 2 shown]
	ds_load_b32 v14, v53
	ds_load_b32 v28, v16 offset:5644
.LBB0_17:
	s_wait_alu 0xfffe
	s_or_b32 exec_lo, exec_lo, s1
	v_and_b32_e32 v19, 0xff, v49
	s_delay_alu instid0(VALU_DEP_1) | instskip(NEXT) | instid1(VALU_DEP_1)
	v_mul_lo_u16 v19, 0xf1, v19
	v_lshrrev_b16 v19, 12, v19
	s_delay_alu instid0(VALU_DEP_1) | instskip(NEXT) | instid1(VALU_DEP_1)
	v_mul_lo_u16 v22, v19, 17
	v_sub_nc_u16 v22, v49, v22
	s_delay_alu instid0(VALU_DEP_1) | instskip(NEXT) | instid1(VALU_DEP_1)
	v_and_b32_e32 v22, 0xff, v22
	v_lshlrev_b32_e32 v29, 5, v22
	s_clause 0x1
	global_load_b128 v[69:72], v29, s[4:5]
	global_load_b128 v[73:76], v29, s[4:5] offset:16
	v_and_b32_e32 v20, 0xff, v52
	s_wait_loadcnt 0x1
	v_dual_mul_f32 v68, v27, v72 :: v_dual_and_b32 v23, 0xff, v51
	s_wait_dscnt 0x8
	v_mul_f32_e32 v101, v4, v70
	v_mul_lo_u16 v20, 0xf1, v20
	s_delay_alu instid0(VALU_DEP_3)
	v_mul_lo_u16 v23, 0xf1, v23
	s_wait_dscnt 0x7
	v_dual_mul_f32 v67, v32, v70 :: v_dual_mul_f32 v70, v3, v72
	v_fma_f32 v32, v32, v69, -v101
	v_lshrrev_b16 v20, 12, v20
	v_lshrrev_b16 v23, 12, v23
	s_wait_loadcnt_dscnt 0x6
	v_mul_f32_e32 v72, v12, v74
	s_wait_dscnt 0x5
	v_dual_mul_f32 v65, v34, v74 :: v_dual_mul_f32 v74, v7, v76
	v_mul_lo_u16 v25, v20, 17
	v_mul_lo_u16 v40, v23, 17
	v_fma_f32 v34, v34, v73, -v72
	v_mul_f32_e32 v66, v31, v76
	v_fma_f32 v31, v31, v75, -v74
	v_sub_nc_u16 v25, v52, v25
	v_sub_nc_u16 v40, v51, v40
	v_fmac_f32_e32 v65, v12, v73
	s_delay_alu instid0(VALU_DEP_3) | instskip(NEXT) | instid1(VALU_DEP_1)
	v_and_b32_e32 v25, 0xff, v25
	v_lshlrev_b32_e32 v42, 5, v25
	global_load_b128 v[77:80], v42, s[4:5]
	v_and_b32_e32 v24, 0xffff, v50
	v_and_b32_e32 v29, 0xff, v40
	global_load_b128 v[81:84], v42, s[4:5] offset:16
	v_lshlrev_b32_e32 v25, 2, v25
	v_mul_u32_u24_e32 v24, 0xf0f1, v24
	s_delay_alu instid0(VALU_DEP_1) | instskip(NEXT) | instid1(VALU_DEP_1)
	v_lshrrev_b32_e32 v24, 20, v24
	v_mul_lo_u16 v41, v24, 17
	s_delay_alu instid0(VALU_DEP_1)
	v_sub_nc_u16 v40, v50, v41
	v_lshlrev_b32_e32 v41, 5, v29
	global_load_b128 v[85:88], v41, s[4:5]
	v_and_b32_e32 v40, 0xffff, v40
	v_and_b32_e32 v19, 0xffff, v19
	s_wait_loadcnt 0x2
	v_dual_mul_f32 v76, v5, v78 :: v_dual_and_b32 v23, 0xffff, v23
	v_dual_mul_f32 v50, v33, v78 :: v_dual_lshlrev_b32 v29, 2, v29
	s_wait_dscnt 0x3
	v_mul_f32_e32 v78, v10, v80
	s_delay_alu instid0(VALU_DEP_3)
	v_mul_u32_u24_e32 v23, 0x154, v23
	s_wait_loadcnt 0x1
	v_dual_mul_f32 v51, v38, v80 :: v_dual_mul_f32 v80, v13, v82
	v_mul_f32_e32 v52, v35, v82
	s_wait_dscnt 0x2
	v_mul_f32_e32 v82, v8, v84
	s_delay_alu instid0(VALU_DEP_3)
	v_dual_mul_f32 v64, v36, v84 :: v_dual_fmac_f32 v51, v10, v79
	v_add3_u32 v29, 0, v23, v29
	v_fma_f32 v12, v33, v77, -v76
	v_fmac_f32_e32 v50, v5, v77
	v_fma_f32 v10, v35, v81, -v80
	v_fmac_f32_e32 v52, v13, v81
	;; [unrolled: 2-line block ×3, first 2 shown]
	v_fma_f32 v7, v38, v79, -v78
	v_dual_fmac_f32 v64, v8, v83 :: v_dual_sub_f32 v33, v31, v34
	v_add_f32_e32 v35, v32, v31
	s_wait_loadcnt 0x0
	v_dual_mul_f32 v45, v26, v86 :: v_dual_lshlrev_b32 v42, 5, v40
	s_clause 0x2
	global_load_b128 v[89:92], v41, s[4:5] offset:16
	global_load_b128 v[93:96], v42, s[4:5]
	global_load_b128 v[97:100], v42, s[4:5] offset:16
	v_and_b32_e32 v41, 0xffff, v20
	v_mul_lo_u16 v20, 0x55, v24
	v_mul_u32_u24_e32 v24, 0x154, v19
	v_dual_mul_f32 v84, v2, v86 :: v_dual_lshlrev_b32 v19, 2, v40
	s_delay_alu instid0(VALU_DEP_4) | instskip(SKIP_3) | instid1(VALU_DEP_4)
	v_mul_u32_u24_e32 v42, 0x154, v41
	v_mul_f32_e32 v86, v11, v88
	v_dual_mul_f32 v46, v39, v88 :: v_dual_fmac_f32 v67, v4, v69
	v_fma_f32 v69, v27, v71, -v70
	v_add3_u32 v40, 0, v42, v25
	v_fmac_f32_e32 v45, v2, v85
	v_fma_f32 v2, v39, v87, -v86
	v_add_f32_e32 v39, v7, v10
	global_wb scope:SCOPE_SE
	s_wait_loadcnt_dscnt 0x0
	s_barrier_signal -1
	s_barrier_wait -1
	global_inv scope:SCOPE_SE
	v_mul_f32_e32 v88, v6, v90
	v_dual_mul_f32 v47, v30, v90 :: v_dual_mul_f32 v90, v9, v92
	v_mul_f32_e32 v42, v37, v92
	v_dual_mul_f32 v23, v63, v96 :: v_dual_lshlrev_b32 v22, 2, v22
	v_mul_f32_e32 v25, v61, v100
	s_delay_alu instid0(VALU_DEP_4)
	v_fma_f32 v5, v37, v91, -v90
	v_sub_f32_e32 v37, v34, v31
	v_fmac_f32_e32 v68, v3, v71
	v_fma_f32 v3, v26, v85, -v84
	v_add3_u32 v41, 0, v24, v22
	v_dual_mul_f32 v92, v21, v94 :: v_dual_fmac_f32 v23, v44, v95
	v_dual_mul_f32 v22, v57, v94 :: v_dual_fmac_f32 v25, v28, v99
	v_mul_f32_e32 v94, v44, v96
	v_mul_f32_e32 v96, v43, v98
	;; [unrolled: 1-line block ×4, first 2 shown]
	v_fma_f32 v4, v30, v89, -v88
	v_dual_fmac_f32 v47, v6, v89 :: v_dual_add_f32 v6, v60, v32
	v_dual_add_f32 v71, v59, v3 :: v_dual_sub_f32 v28, v32, v69
	s_delay_alu instid0(VALU_DEP_3)
	v_dual_sub_f32 v36, v69, v32 :: v_dual_sub_f32 v79, v4, v5
	v_dual_fmac_f32 v42, v9, v91 :: v_dual_sub_f32 v75, v3, v2
	v_fmac_f32_e32 v22, v21, v93
	v_fma_f32 v30, v61, v99, -v98
	v_dual_add_f32 v8, v69, v34 :: v_dual_add_f32 v77, v3, v5
	v_dual_add_f32 v38, v58, v12 :: v_dual_sub_f32 v61, v13, v10
	v_sub_f32_e32 v9, v67, v66
	v_fma_f32 v21, v63, v95, -v94
	v_dual_sub_f32 v63, v7, v12 :: v_dual_add_f32 v28, v28, v33
	v_add_f32_e32 v33, v36, v37
	v_dual_fmac_f32 v24, v43, v97 :: v_dual_sub_f32 v43, v50, v64
	v_fma_f32 v36, -0.5, v39, v58
	v_fma_f32 v26, v57, v93, -v92
	v_dual_sub_f32 v57, v12, v7 :: v_dual_add_f32 v72, v2, v4
	v_dual_fmac_f32 v46, v11, v87 :: v_dual_sub_f32 v73, v45, v42
	v_sub_f32_e32 v11, v68, v65
	v_fma_f32 v27, v62, v97, -v96
	v_sub_f32_e32 v76, v5, v4
	v_fma_f32 v8, -0.5, v8, v60
	v_dual_sub_f32 v70, v10, v13 :: v_dual_add_f32 v39, v71, v2
	v_dual_fmamk_f32 v71, v43, 0x3f737871, v36 :: v_dual_add_f32 v62, v12, v13
	v_dual_sub_f32 v44, v51, v52 :: v_dual_add_f32 v37, v57, v61
	v_fma_f32 v57, -0.5, v72, v59
	v_fmac_f32_e32 v60, -0.5, v35
	v_dual_add_f32 v35, v38, v7 :: v_dual_add_f32 v38, v63, v70
	s_delay_alu instid0(VALU_DEP_4)
	v_fmac_f32_e32 v71, 0x3f167918, v44
	v_add_f32_e32 v61, v75, v76
	v_fmamk_f32 v63, v9, 0x3f737871, v8
	v_fmac_f32_e32 v58, -0.5, v62
	v_dual_sub_f32 v74, v46, v47 :: v_dual_add_f32 v35, v35, v10
	v_dual_add_f32 v6, v6, v69 :: v_dual_fmamk_f32 v75, v73, 0x3f737871, v57
	v_fmac_f32_e32 v59, -0.5, v77
	v_dual_fmac_f32 v57, 0xbf737871, v73 :: v_dual_fmamk_f32 v70, v11, 0xbf737871, v60
	v_fmac_f32_e32 v60, 0x3f737871, v11
	v_fmac_f32_e32 v8, 0xbf737871, v9
	;; [unrolled: 1-line block ×3, first 2 shown]
	v_fmamk_f32 v72, v44, 0xbf737871, v58
	v_fmac_f32_e32 v58, 0x3f737871, v44
	v_dual_sub_f32 v78, v2, v3 :: v_dual_add_f32 v39, v39, v4
	v_add_f32_e32 v6, v6, v34
	v_fmac_f32_e32 v36, 0xbf737871, v43
	v_fmamk_f32 v76, v74, 0xbf737871, v59
	v_fmac_f32_e32 v59, 0x3f737871, v74
	v_fmac_f32_e32 v70, 0x3f167918, v9
	;; [unrolled: 1-line block ×3, first 2 shown]
	v_dual_fmac_f32 v8, 0xbf167918, v11 :: v_dual_fmac_f32 v57, 0xbf167918, v74
	v_fmac_f32_e32 v72, 0x3f167918, v43
	v_fmac_f32_e32 v58, 0xbf167918, v43
	v_dual_add_f32 v62, v78, v79 :: v_dual_add_f32 v9, v35, v13
	v_dual_fmac_f32 v36, 0xbf167918, v44 :: v_dual_fmac_f32 v59, 0xbf167918, v73
	v_dual_add_f32 v11, v39, v5 :: v_dual_add_f32 v6, v6, v31
	v_dual_fmac_f32 v75, 0x3f167918, v74 :: v_dual_fmac_f32 v76, 0x3f167918, v73
	v_dual_fmac_f32 v63, 0x3e9e377a, v28 :: v_dual_fmac_f32 v70, 0x3e9e377a, v33
	s_delay_alu instid0(VALU_DEP_4) | instskip(SKIP_1) | instid1(VALU_DEP_4)
	v_dual_fmac_f32 v60, 0x3e9e377a, v33 :: v_dual_fmac_f32 v59, 0x3e9e377a, v62
	v_dual_fmac_f32 v8, 0x3e9e377a, v28 :: v_dual_fmac_f32 v71, 0x3e9e377a, v37
	;; [unrolled: 1-line block ×4, first 2 shown]
	v_fmac_f32_e32 v36, 0x3e9e377a, v37
	v_fmac_f32_e32 v76, 0x3e9e377a, v62
	ds_store_2addr_b32 v41, v6, v63 offset1:17
	ds_store_2addr_b32 v41, v70, v60 offset0:34 offset1:51
	ds_store_b32 v41, v8 offset:272
	ds_store_2addr_b32 v40, v9, v71 offset1:17
	ds_store_2addr_b32 v40, v72, v58 offset0:34 offset1:51
	ds_store_b32 v40, v36 offset:272
	;; [unrolled: 3-line block ×3, first 2 shown]
	s_and_saveexec_b32 s1, s0
	s_cbranch_execz .LBB0_19
; %bb.18:
	v_dual_add_f32 v6, v26, v30 :: v_dual_sub_f32 v11, v23, v24
	v_dual_sub_f32 v9, v27, v30 :: v_dual_add_f32 v28, v21, v27
	v_dual_sub_f32 v8, v21, v26 :: v_dual_sub_f32 v33, v22, v25
	s_delay_alu instid0(VALU_DEP_3) | instskip(SKIP_1) | instid1(VALU_DEP_4)
	v_fma_f32 v6, -0.5, v6, v56
	v_dual_sub_f32 v35, v26, v21 :: v_dual_add_f32 v38, v56, v26
	v_fma_f32 v28, -0.5, v28, v56
	s_delay_alu instid0(VALU_DEP_3) | instskip(SKIP_1) | instid1(VALU_DEP_3)
	v_dual_sub_f32 v36, v30, v27 :: v_dual_fmamk_f32 v37, v11, 0x3f737871, v6
	v_dual_add_f32 v8, v8, v9 :: v_dual_and_b32 v39, 0xffff, v20
	v_dual_fmamk_f32 v9, v33, 0xbf737871, v28 :: v_dual_add_f32 v38, v38, v21
	s_delay_alu instid0(VALU_DEP_3) | instskip(NEXT) | instid1(VALU_DEP_4)
	v_fmac_f32_e32 v37, 0xbf167918, v33
	v_dual_fmac_f32 v28, 0x3f737871, v33 :: v_dual_add_f32 v35, v35, v36
	s_delay_alu instid0(VALU_DEP_3) | instskip(NEXT) | instid1(VALU_DEP_4)
	v_fmac_f32_e32 v9, 0xbf167918, v11
	v_add_f32_e32 v36, v38, v27
	v_fmac_f32_e32 v6, 0xbf737871, v11
	v_dual_fmac_f32 v37, 0x3e9e377a, v8 :: v_dual_lshlrev_b32 v38, 2, v39
	s_delay_alu instid0(VALU_DEP_3) | instskip(NEXT) | instid1(VALU_DEP_3)
	v_dual_fmac_f32 v28, 0x3f167918, v11 :: v_dual_add_f32 v11, v36, v30
	v_fmac_f32_e32 v6, 0x3f167918, v33
	v_fmac_f32_e32 v9, 0x3e9e377a, v35
	s_delay_alu instid0(VALU_DEP_4) | instskip(NEXT) | instid1(VALU_DEP_4)
	v_add3_u32 v33, 0, v19, v38
	v_fmac_f32_e32 v28, 0x3e9e377a, v35
	s_delay_alu instid0(VALU_DEP_4)
	v_fmac_f32_e32 v6, 0x3e9e377a, v8
	ds_store_2addr_b32 v33, v11, v28 offset1:17
	ds_store_2addr_b32 v33, v6, v37 offset0:34 offset1:51
	ds_store_b32 v33, v9 offset:272
.LBB0_19:
	s_wait_alu 0xfffe
	s_or_b32 exec_lo, exec_lo, s1
	v_dual_add_f32 v6, v68, v65 :: v_dual_sub_f32 v11, v69, v34
	v_add_f32_e32 v8, v18, v67
	v_dual_sub_f32 v9, v32, v31 :: v_dual_sub_f32 v28, v67, v68
	s_delay_alu instid0(VALU_DEP_3) | instskip(NEXT) | instid1(VALU_DEP_3)
	v_fma_f32 v35, -0.5, v6, v18
	v_dual_add_f32 v31, v67, v66 :: v_dual_add_f32 v8, v8, v68
	v_sub_f32_e32 v2, v2, v4
	global_wb scope:SCOPE_SE
	s_wait_dscnt 0x0
	v_fmamk_f32 v36, v9, 0xbf737871, v35
	v_fmac_f32_e32 v18, -0.5, v31
	v_sub_f32_e32 v6, v66, v65
	v_fmac_f32_e32 v35, 0x3f737871, v9
	s_barrier_signal -1
	v_sub_f32_e32 v7, v7, v10
	v_dual_fmamk_f32 v37, v11, 0x3f737871, v18 :: v_dual_sub_f32 v32, v68, v67
	s_delay_alu instid0(VALU_DEP_3) | instskip(NEXT) | instid1(VALU_DEP_2)
	v_dual_add_f32 v6, v28, v6 :: v_dual_fmac_f32 v35, 0x3f167918, v11
	v_dual_sub_f32 v28, v65, v66 :: v_dual_fmac_f32 v37, 0xbf167918, v9
	v_fmac_f32_e32 v36, 0xbf167918, v11
	s_delay_alu instid0(VALU_DEP_3) | instskip(NEXT) | instid1(VALU_DEP_3)
	v_dual_sub_f32 v10, v50, v51 :: v_dual_fmac_f32 v35, 0x3e9e377a, v6
	v_add_f32_e32 v28, v32, v28
	v_add_f32_e32 v8, v8, v65
	v_dual_fmac_f32 v18, 0xbf737871, v11 :: v_dual_add_f32 v11, v15, v50
	s_barrier_wait -1
	s_delay_alu instid0(VALU_DEP_3)
	v_fmac_f32_e32 v37, 0x3e9e377a, v28
	global_inv scope:SCOPE_SE
	v_dual_fmac_f32 v18, 0x3f167918, v9 :: v_dual_add_f32 v9, v50, v64
	v_add_f32_e32 v38, v8, v66
	v_add_f32_e32 v8, v51, v52
	v_fmac_f32_e32 v36, 0x3e9e377a, v6
	ds_load_b32 v31, v54
	v_fma_f32 v39, -0.5, v8, v15
	v_dual_add_f32 v6, v11, v51 :: v_dual_sub_f32 v11, v64, v52
	v_sub_f32_e32 v8, v12, v13
	v_dual_fmac_f32 v15, -0.5, v9 :: v_dual_add_nc_u32 v12, 0x1000, v16
	s_delay_alu instid0(VALU_DEP_3) | instskip(NEXT) | instid1(VALU_DEP_3)
	v_add_f32_e32 v9, v10, v11
	v_fmamk_f32 v43, v8, 0xbf737871, v39
	v_fmac_f32_e32 v39, 0x3f737871, v8
	v_add_f32_e32 v6, v6, v52
	v_dual_fmamk_f32 v44, v7, 0x3f737871, v15 :: v_dual_sub_f32 v11, v52, v64
	v_fmac_f32_e32 v15, 0xbf737871, v7
	s_delay_alu instid0(VALU_DEP_4) | instskip(SKIP_3) | instid1(VALU_DEP_4)
	v_dual_fmac_f32 v39, 0x3f167918, v7 :: v_dual_sub_f32 v10, v51, v50
	v_fmac_f32_e32 v18, 0x3e9e377a, v28
	v_fmac_f32_e32 v43, 0xbf167918, v7
	v_dual_add_f32 v7, v17, v45 :: v_dual_add_f32 v50, v6, v64
	v_dual_fmac_f32 v39, 0x3e9e377a, v9 :: v_dual_add_f32 v6, v10, v11
	v_dual_fmac_f32 v15, 0x3f167918, v8 :: v_dual_add_f32 v10, v46, v47
	v_sub_f32_e32 v52, v3, v5
	s_delay_alu instid0(VALU_DEP_4) | instskip(SKIP_1) | instid1(VALU_DEP_4)
	v_add_f32_e32 v7, v7, v46
	v_sub_f32_e32 v3, v45, v46
	v_fmac_f32_e32 v15, 0x3e9e377a, v6
	v_fma_f32 v51, -0.5, v10, v17
	v_dual_fmac_f32 v44, 0xbf167918, v8 :: v_dual_sub_f32 v5, v46, v45
	v_dual_add_f32 v8, v45, v42 :: v_dual_fmac_f32 v43, 0x3e9e377a, v9
	s_delay_alu instid0(VALU_DEP_3) | instskip(NEXT) | instid1(VALU_DEP_3)
	v_fmamk_f32 v57, v52, 0xbf737871, v51
	v_fmac_f32_e32 v44, 0x3e9e377a, v6
	s_delay_alu instid0(VALU_DEP_3) | instskip(SKIP_1) | instid1(VALU_DEP_4)
	v_dual_sub_f32 v6, v47, v42 :: v_dual_fmac_f32 v17, -0.5, v8
	v_add_nc_u32_e32 v10, 0xe00, v16
	v_dual_fmac_f32 v57, 0xbf167918, v2 :: v_dual_add_f32 v56, v7, v47
	v_dual_fmac_f32 v51, 0x3f737871, v52 :: v_dual_sub_f32 v4, v42, v47
	s_delay_alu instid0(VALU_DEP_1) | instskip(SKIP_2) | instid1(VALU_DEP_3)
	v_dual_add_f32 v42, v56, v42 :: v_dual_add_f32 v45, v3, v4
	v_dual_add_f32 v46, v5, v6 :: v_dual_add_nc_u32 v3, 0x800, v16
	v_add_nc_u32_e32 v6, 0xc00, v16
	v_fmac_f32_e32 v57, 0x3e9e377a, v45
	v_fmamk_f32 v58, v2, 0x3f737871, v17
	v_fmac_f32_e32 v51, 0x3f167918, v2
	v_fmac_f32_e32 v17, 0xbf737871, v2
	v_add_nc_u32_e32 v2, 0x400, v16
	ds_load_b32 v32, v53
	ds_load_b32 v34, v16 offset:5440
	ds_load_b32 v28, v16
	ds_load_b32 v33, v55
	ds_load_2addr_b32 v[8:9], v2 offset0:84 offset1:169
	v_add_nc_u32_e32 v2, 0x600, v16
	ds_load_2addr_b32 v[4:5], v2 offset0:126 offset1:211
	ds_load_2addr_b32 v[2:3], v3 offset0:168 offset1:253
	;; [unrolled: 1-line block ×5, first 2 shown]
	v_fmac_f32_e32 v58, 0xbf167918, v52
	v_fmac_f32_e32 v17, 0x3f167918, v52
	;; [unrolled: 1-line block ×3, first 2 shown]
	global_wb scope:SCOPE_SE
	s_wait_dscnt 0x0
	s_barrier_signal -1
	v_fmac_f32_e32 v58, 0x3e9e377a, v46
	v_fmac_f32_e32 v17, 0x3e9e377a, v46
	s_barrier_wait -1
	global_inv scope:SCOPE_SE
	ds_store_2addr_b32 v41, v38, v36 offset1:17
	ds_store_2addr_b32 v41, v37, v18 offset0:34 offset1:51
	ds_store_b32 v41, v35 offset:272
	ds_store_2addr_b32 v40, v50, v43 offset1:17
	ds_store_2addr_b32 v40, v44, v15 offset0:34 offset1:51
	ds_store_b32 v40, v39 offset:272
	;; [unrolled: 3-line block ×3, first 2 shown]
	s_and_saveexec_b32 s1, s0
	s_cbranch_execz .LBB0_21
; %bb.20:
	v_dual_add_f32 v17, v23, v24 :: v_dual_sub_f32 v18, v26, v30
	v_dual_sub_f32 v21, v21, v27 :: v_dual_add_f32 v26, v22, v25
	v_add_f32_e32 v15, v14, v22
	s_delay_alu instid0(VALU_DEP_3) | instskip(SKIP_1) | instid1(VALU_DEP_4)
	v_fma_f32 v17, -0.5, v17, v14
	v_sub_f32_e32 v27, v22, v23
	v_dual_sub_f32 v29, v25, v24 :: v_dual_fmac_f32 v14, -0.5, v26
	v_sub_f32_e32 v22, v23, v22
	s_delay_alu instid0(VALU_DEP_4) | instskip(SKIP_2) | instid1(VALU_DEP_3)
	v_fmamk_f32 v26, v18, 0xbf737871, v17
	v_fmac_f32_e32 v17, 0x3f737871, v18
	v_and_b32_e32 v20, 0xffff, v20
	v_dual_fmac_f32 v26, 0xbf167918, v21 :: v_dual_add_f32 v15, v15, v23
	v_sub_f32_e32 v23, v24, v25
	v_add_f32_e32 v27, v27, v29
	s_delay_alu instid0(VALU_DEP_4) | instskip(NEXT) | instid1(VALU_DEP_4)
	v_dual_fmamk_f32 v29, v21, 0x3f737871, v14 :: v_dual_lshlrev_b32 v20, 2, v20
	v_dual_add_f32 v15, v15, v24 :: v_dual_fmac_f32 v14, 0xbf737871, v21
	s_delay_alu instid0(VALU_DEP_2) | instskip(SKIP_1) | instid1(VALU_DEP_3)
	v_dual_add_f32 v22, v22, v23 :: v_dual_fmac_f32 v29, 0xbf167918, v18
	v_fmac_f32_e32 v17, 0x3f167918, v21
	v_dual_add_f32 v15, v15, v25 :: v_dual_fmac_f32 v14, 0x3f167918, v18
	s_delay_alu instid0(VALU_DEP_3) | instskip(SKIP_1) | instid1(VALU_DEP_3)
	v_dual_fmac_f32 v26, 0x3e9e377a, v27 :: v_dual_fmac_f32 v29, 0x3e9e377a, v22
	v_add3_u32 v18, 0, v19, v20
	v_dual_fmac_f32 v17, 0x3e9e377a, v27 :: v_dual_fmac_f32 v14, 0x3e9e377a, v22
	ds_store_2addr_b32 v18, v15, v26 offset1:17
	ds_store_2addr_b32 v18, v29, v14 offset0:34 offset1:51
	ds_store_b32 v18, v17 offset:272
.LBB0_21:
	s_wait_alu 0xfffe
	s_or_b32 exec_lo, exec_lo, s1
	global_wb scope:SCOPE_SE
	s_wait_dscnt 0x0
	s_barrier_signal -1
	s_barrier_wait -1
	global_inv scope:SCOPE_SE
	s_and_saveexec_b32 s0, vcc_lo
	s_cbranch_execz .LBB0_23
; %bb.22:
	v_dual_mov_b32 v15, 0 :: v_dual_lshlrev_b32 v14, 4, v49
	s_delay_alu instid0(VALU_DEP_1) | instskip(NEXT) | instid1(VALU_DEP_1)
	v_lshlrev_b64_e32 v[14:15], 3, v[14:15]
	v_add_co_u32 v14, vcc_lo, s4, v14
	s_wait_alu 0xfffd
	s_delay_alu instid0(VALU_DEP_2)
	v_add_co_ci_u32_e32 v15, vcc_lo, s5, v15, vcc_lo
	s_clause 0x7
	global_load_b128 v[35:38], v[14:15], off offset:544
	global_load_b128 v[39:42], v[14:15], off offset:656
	;; [unrolled: 1-line block ×8, first 2 shown]
	v_add_nc_u32_e32 v14, 0x1000, v16
	ds_load_b32 v25, v54
	ds_load_b32 v24, v16 offset:5440
	ds_load_b32 v26, v55
	ds_load_2addr_b32 v[14:15], v14 offset0:166 offset1:251
	ds_load_b32 v27, v53
	v_add_nc_u32_e32 v17, 0x400, v16
	v_add_nc_u32_e32 v18, 0xe00, v16
	;; [unrolled: 1-line block ×4, first 2 shown]
	ds_load_2addr_b32 v[49:50], v17 offset0:84 offset1:169
	ds_load_2addr_b32 v[52:53], v18 offset0:124 offset1:209
	s_wait_loadcnt 0x7
	v_dual_mul_f32 v68, v33, v38 :: v_dual_add_nc_u32 v17, 0x800, v16
	s_wait_dscnt 0x6
	v_mul_f32_e32 v30, v25, v36
	v_mul_f32_e32 v72, v31, v36
	s_wait_dscnt 0x4
	v_mul_f32_e32 v36, v26, v38
	s_wait_loadcnt 0x3
	v_mul_f32_e32 v57, v9, v74
	v_mul_f32_e32 v63, v8, v46
	ds_load_b32 v29, v16
	ds_load_2addr_b32 v[66:67], v19 offset0:126 offset1:211
	ds_load_2addr_b32 v[70:71], v20 offset0:82 offset1:167
	;; [unrolled: 1-line block ×3, first 2 shown]
	v_mul_f32_e32 v21, v24, v42
	v_mul_f32_e32 v16, v34, v42
	s_wait_dscnt 0x5
	v_dual_mul_f32 v42, v15, v40 :: v_dual_fmac_f32 v63, v45, v49
	v_dual_mul_f32 v17, v13, v40 :: v_dual_mul_f32 v40, v14, v61
	v_dual_mul_f32 v38, v27, v44 :: v_dual_fmac_f32 v57, v73, v50
	s_wait_loadcnt 0x2
	v_dual_mul_f32 v20, v12, v61 :: v_dual_mul_f32 v23, v10, v80
	v_dual_mul_f32 v65, v32, v44 :: v_dual_mul_f32 v44, v49, v46
	s_wait_dscnt 0x4
	v_mul_f32_e32 v47, v53, v59
	v_mul_f32_e32 v22, v11, v59
	v_dual_mul_f32 v46, v50, v74 :: v_dual_mul_f32 v55, v4, v76
	s_wait_loadcnt 0x0
	v_dual_mul_f32 v54, v52, v80 :: v_dual_mul_f32 v51, v3, v86
	s_wait_dscnt 0x2
	v_mul_f32_e32 v59, v66, v76
	s_wait_dscnt 0x1
	v_mul_f32_e32 v61, v71, v78
	v_dual_mul_f32 v18, v7, v78 :: v_dual_mul_f32 v69, v70, v88
	v_dual_mul_f32 v64, v67, v82 :: v_dual_mul_f32 v19, v6, v88
	s_wait_dscnt 0x0
	v_dual_mul_f32 v74, v89, v84 :: v_dual_fmac_f32 v65, v43, v27
	v_dual_mul_f32 v76, v90, v86 :: v_dual_fmac_f32 v23, v79, v52
	;; [unrolled: 1-line block ×3, first 2 shown]
	v_fma_f32 v21, v34, v41, -v21
	v_dual_fmac_f32 v16, v41, v24 :: v_dual_fmac_f32 v19, v87, v70
	v_fma_f32 v142, v31, v35, -v30
	v_dual_fmac_f32 v72, v35, v25 :: v_dual_fmac_f32 v51, v85, v90
	v_dual_mul_f32 v56, v5, v82 :: v_dual_fmac_f32 v17, v39, v15
	v_fma_f32 v24, v13, v39, -v42
	v_fma_f32 v133, v33, v37, -v36
	v_dual_fmac_f32 v68, v37, v26 :: v_dual_sub_f32 v173, v142, v21
	v_fma_f32 v119, v32, v43, -v38
	v_fma_f32 v25, v12, v60, -v40
	v_fmac_f32_e32 v20, v60, v14
	v_fma_f32 v110, v8, v45, -v44
	v_fma_f32 v26, v11, v58, -v47
	v_dual_fmac_f32 v22, v58, v53 :: v_dual_add_f32 v45, v72, v16
	v_fma_f32 v93, v4, v75, -v59
	v_fma_f32 v53, v7, v77, -v61
	;; [unrolled: 1-line block ×6, first 2 shown]
	v_dual_fmac_f32 v62, v83, v89 :: v_dual_add_f32 v35, v57, v23
	v_dual_sub_f32 v170, v72, v16 :: v_dual_add_f32 v37, v93, v53
	v_dual_fmac_f32 v18, v77, v71 :: v_dual_sub_f32 v15, v110, v26
	v_dual_sub_f32 v172, v133, v24 :: v_dual_sub_f32 v139, v91, v69
	v_dual_add_f32 v44, v68, v17 :: v_dual_sub_f32 v111, v86, v80
	v_sub_f32_e32 v171, v119, v25
	v_dual_add_f32 v36, v63, v22 :: v_dual_add_f32 v43, v142, v21
	v_dual_sub_f32 v162, v93, v53 :: v_dual_sub_f32 v167, v63, v22
	v_dual_add_f32 v30, v62, v51 :: v_dual_sub_f32 v169, v68, v17
	v_dual_sub_f32 v168, v65, v20 :: v_dual_sub_f32 v165, v55, v18
	s_delay_alu instid0(VALU_DEP_3)
	v_dual_mul_f32 v148, 0xbe3c28d5, v173 :: v_dual_mul_f32 v95, 0xbe3c28d5, v162
	v_dual_mul_f32 v106, 0xbe3c28d5, v170 :: v_dual_mul_f32 v105, 0xbe3c28d5, v139
	v_fma_f32 v100, v9, v73, -v46
	v_fma_f32 v27, v10, v79, -v54
	v_dual_fmac_f32 v56, v81, v67 :: v_dual_add_f32 v33, v55, v18
	v_add_f32_e32 v42, v133, v24
	v_dual_mul_f32 v58, 0xbf763a35, v139 :: v_dual_mul_f32 v143, 0xbf763a35, v173
	v_dual_mul_f32 v92, 0xbf06c442, v168 :: v_dual_mul_f32 v107, 0xbf06c442, v173
	;; [unrolled: 1-line block ×3, first 2 shown]
	v_fmamk_f32 v2, v45, 0xbf7ba420, v148
	v_mul_f32_e32 v97, 0x3eb8f4ab, v169
	v_fma_f32 v3, 0xbf7ba420, v43, -v106
	v_dual_add_f32 v38, v65, v20 :: v_dual_add_f32 v31, v56, v19
	v_dual_sub_f32 v14, v100, v27 :: v_dual_add_f32 v41, v119, v25
	v_add_f32_e32 v39, v100, v27
	v_dual_sub_f32 v166, v57, v23 :: v_dual_mul_f32 v137, 0x3eb8f4ab, v172
	v_dual_mul_f32 v78, 0x3f65296c, v162 :: v_dual_add_f32 v3, v28, v3
	v_dual_mul_f32 v131, 0x3f763a35, v172 :: v_dual_mul_f32 v156, 0x3f763a35, v171
	v_fmamk_f32 v192, v30, 0xbe8c1d8e, v67
	v_fmamk_f32 v178, v45, 0xbf59a7d5, v107
	;; [unrolled: 1-line block ×3, first 2 shown]
	v_add_f32_e32 v2, v29, v2
	v_fma_f32 v5, 0x3f6eb680, v42, -v97
	v_mul_f32_e32 v112, 0x3f65296c, v172
	v_dual_mul_f32 v134, 0xbf7ee86f, v171 :: v_dual_mul_f32 v113, 0xbf7ee86f, v168
	v_dual_mul_f32 v124, 0xbf4c4adb, v170 :: v_dual_mul_f32 v103, 0xbf4c4adb, v169
	v_dual_mul_f32 v73, 0xbf2c7751, v165 :: v_dual_add_f32 v178, v29, v178
	v_dual_mul_f32 v147, 0xbf7ee86f, v173 :: v_dual_mul_f32 v94, 0xbf7ee86f, v139
	v_dual_mul_f32 v129, 0x3f763a35, v168 :: v_dual_add_f32 v202, v29, v202
	v_mul_f32_e32 v158, 0xbf65296c, v173
	v_fmamk_f32 v4, v44, 0x3f6eb680, v137
	v_mul_f32_e32 v149, 0x3f7ee86f, v14
	v_add_f32_e32 v3, v3, v5
	v_dual_fmamk_f32 v179, v44, 0x3ee437d1, v112 :: v_dual_add_f32 v40, v110, v26
	v_dual_sub_f32 v163, v56, v19 :: v_dual_add_f32 v34, v91, v69
	v_dual_sub_f32 v161, v62, v51 :: v_dual_mul_f32 v82, 0xbf4c4adb, v14
	v_mul_f32_e32 v77, 0xbf4c4adb, v111
	v_mul_f32_e32 v88, 0x3f2c7751, v167
	v_dual_mul_f32 v76, 0xbf4c4adb, v166 :: v_dual_mul_f32 v157, 0xbf4c4adb, v172
	v_dual_mul_f32 v117, 0x3f763a35, v169 :: v_dual_mul_f32 v116, 0x3f763a35, v167
	v_dual_mul_f32 v145, 0xbf2c7751, v162 :: v_dual_add_f32 v178, v178, v179
	v_fma_f32 v7, 0xbf59a7d5, v41, -v92
	v_fma_f32 v196, 0xbf1a4643, v43, -v124
	v_fmamk_f32 v206, v45, 0x3dbcf732, v147
	v_fmamk_f32 v210, v45, 0x3ee437d1, v158
	v_add_f32_e32 v2, v2, v4
	v_dual_fmamk_f32 v182, v38, 0x3dbcf732, v134 :: v_dual_fmamk_f32 v179, v35, 0x3dbcf732, v149
	v_mul_f32_e32 v140, 0xbe3c28d5, v172
	v_dual_mul_f32 v64, 0x3f65296c, v165 :: v_dual_add_f32 v3, v3, v7
	v_dual_mul_f32 v128, 0xbeb8f4ab, v14 :: v_dual_mul_f32 v115, 0xbeb8f4ab, v168
	v_dual_mul_f32 v127, 0x3f06c442, v169 :: v_dual_add_f32 v196, v28, v196
	v_dual_mul_f32 v121, 0x3f4c4adb, v139 :: v_dual_add_f32 v206, v29, v206
	v_mul_f32_e32 v49, 0x3f2c7751, v161
	v_dual_mul_f32 v164, 0x3e3c28d5, v171 :: v_dual_mul_f32 v123, 0x3e3c28d5, v168
	v_fma_f32 v9, 0x3f3d2fb0, v40, -v88
	v_dual_fmamk_f32 v10, v35, 0xbf1a4643, v82 :: v_dual_fmamk_f32 v211, v44, 0xbf1a4643, v157
	v_dual_fmamk_f32 v188, v33, 0xbf7ba420, v95 :: v_dual_fmamk_f32 v207, v44, 0xbf7ba420, v140
	v_fma_f32 v197, 0xbe8c1d8e, v42, -v117
	v_add_f32_e32 v210, v29, v210
	v_dual_mul_f32 v118, 0xbf06c442, v170 :: v_dual_mul_f32 v87, 0xbf06c442, v167
	v_dual_mul_f32 v70, 0xbe3c28d5, v163 :: v_dual_add_f32 v3, v3, v9
	s_delay_alu instid0(VALU_DEP_4)
	v_dual_mul_f32 v101, 0x3eb8f4ab, v167 :: v_dual_add_f32 v196, v196, v197
	v_fma_f32 v11, 0xbf1a4643, v39, -v76
	v_fma_f32 v199, 0x3f6eb680, v41, -v115
	v_add_f32_e32 v206, v206, v207
	v_fmamk_f32 v207, v38, 0xbf7ba420, v164
	v_add_f32_e32 v210, v210, v211
	v_mul_f32_e32 v138, 0xbf4c4adb, v173
	v_dual_add_f32 v32, v86, v80 :: v_dual_mul_f32 v99, 0xbf06c442, v171
	v_dual_mul_f32 v50, 0xbf4c4adb, v161 :: v_dual_add_f32 v3, v3, v11
	v_fma_f32 v13, 0x3ee437d1, v37, -v64
	v_mul_f32_e32 v120, 0xbf06c442, v162
	v_fma_f32 v180, 0xbf59a7d5, v43, -v118
	v_fma_f32 v201, 0xbf59a7d5, v40, -v87
	v_add_f32_e32 v196, v196, v199
	v_dual_add_f32 v207, v210, v207 :: v_dual_fmamk_f32 v194, v45, 0xbf1a4643, v138
	v_mul_f32_e32 v135, 0x3f06c442, v172
	v_dual_mul_f32 v90, 0x3f2c7751, v139 :: v_dual_mul_f32 v109, 0x3f2c7751, v166
	v_dual_mul_f32 v75, 0x3f7ee86f, v166 :: v_dual_add_f32 v180, v28, v180
	v_mul_f32_e32 v153, 0x3f2c7751, v171
	v_dual_fmamk_f32 v174, v31, 0xbe8c1d8e, v58 :: v_dual_fmamk_f32 v195, v44, 0xbe8c1d8e, v131
	v_add_f32_e32 v194, v29, v194
	v_add_f32_e32 v196, v196, v201
	v_dual_add_f32 v3, v3, v13 :: v_dual_fmamk_f32 v6, v38, 0xbf59a7d5, v99
	v_fmamk_f32 v201, v33, 0xbf59a7d5, v120
	v_fmamk_f32 v203, v44, 0xbf59a7d5, v135
	v_dual_mul_f32 v141, 0xbf7ee86f, v170 :: v_dual_add_f32 v194, v194, v195
	v_dual_fmamk_f32 v190, v31, 0x3f3d2fb0, v90 :: v_dual_fmamk_f32 v195, v38, 0x3f3d2fb0, v153
	v_add_f32_e32 v2, v2, v6
	s_delay_alu instid0(VALU_DEP_4) | instskip(SKIP_3) | instid1(VALU_DEP_4)
	v_add_f32_e32 v202, v202, v203
	v_mul_f32_e32 v114, 0x3f65296c, v169
	v_dual_mul_f32 v150, 0xbf65296c, v15 :: v_dual_mul_f32 v151, 0xbf65296c, v170
	v_dual_mul_f32 v85, 0xbeb8f4ab, v166 :: v_dual_mul_f32 v160, 0xbeb8f4ab, v171
	v_add_f32_e32 v195, v202, v195
	s_delay_alu instid0(VALU_DEP_4) | instskip(SKIP_3) | instid1(VALU_DEP_4)
	v_fma_f32 v181, 0x3ee437d1, v42, -v114
	v_fma_f32 v204, 0xbe8c1d8e, v43, -v136
	;; [unrolled: 1-line block ×3, first 2 shown]
	v_dual_mul_f32 v152, 0xbf06c442, v15 :: v_dual_mul_f32 v83, 0xbf06c442, v165
	v_add_f32_e32 v180, v180, v181
	v_fma_f32 v181, 0x3dbcf732, v39, -v75
	v_mul_f32_e32 v66, 0x3f65296c, v111
	v_dual_mul_f32 v155, 0x3eb8f4ab, v15 :: v_dual_add_f32 v204, v28, v204
	v_fmamk_f32 v198, v38, 0x3f6eb680, v160
	v_fma_f32 v205, 0xbf59a7d5, v42, -v127
	v_mul_f32_e32 v61, 0x3f2c7751, v111
	v_fma_f32 v5, 0xbf1a4643, v42, -v103
	v_add_f32_e32 v181, v196, v181
	v_dual_add_f32 v4, v28, v4 :: v_dual_fmamk_f32 v9, v30, 0x3ee437d1, v66
	v_add_f32_e32 v204, v204, v205
	v_add_f32_e32 v194, v194, v198
	v_fmamk_f32 v11, v30, 0x3f3d2fb0, v61
	v_fmamk_f32 v200, v36, 0xbf59a7d5, v152
	v_add_f32_e32 v4, v4, v5
	v_fma_f32 v208, 0x3dbcf732, v43, -v141
	v_fmamk_f32 v211, v33, 0x3f3d2fb0, v145
	v_dual_mul_f32 v89, 0x3f2c7751, v15 :: v_dual_mul_f32 v126, 0x3f2c7751, v168
	v_dual_add_f32 v194, v194, v200 :: v_dual_mul_f32 v159, 0x3f763a35, v15
	s_delay_alu instid0(VALU_DEP_4) | instskip(SKIP_2) | instid1(VALU_DEP_4)
	v_add_f32_e32 v208, v28, v208
	v_fma_f32 v183, 0x3dbcf732, v41, -v113
	v_fma_f32 v205, 0xbe8c1d8e, v41, -v129
	v_dual_add_f32 v179, v194, v179 :: v_dual_mul_f32 v132, 0xbe3c28d5, v169
	v_fmamk_f32 v202, v31, 0xbf7ba420, v105
	v_dual_mul_f32 v47, 0x3f7ee86f, v111 :: v_dual_mul_f32 v46, 0x3f7ee86f, v161
	s_delay_alu instid0(VALU_DEP_3) | instskip(NEXT) | instid1(VALU_DEP_4)
	v_add_f32_e32 v13, v179, v211
	v_fma_f32 v209, 0xbf7ba420, v42, -v132
	v_fmamk_f32 v8, v36, 0x3f3d2fb0, v89
	v_dual_mul_f32 v144, 0x3f7ee86f, v162 :: v_dual_mul_f32 v81, 0x3f7ee86f, v165
	v_fma_f32 v197, 0x3f3d2fb0, v41, -v126
	s_delay_alu instid0(VALU_DEP_4) | instskip(SKIP_3) | instid1(VALU_DEP_4)
	v_add_f32_e32 v208, v208, v209
	v_mul_f32_e32 v84, 0x3f4c4adb, v167
	v_mul_f32_e32 v130, 0x3f4c4adb, v15
	v_dual_add_f32 v180, v180, v183 :: v_dual_add_f32 v13, v13, v202
	v_add_f32_e32 v205, v208, v205
	s_delay_alu instid0(VALU_DEP_4)
	v_fma_f32 v185, 0xbf1a4643, v40, -v84
	v_dual_add_f32 v2, v2, v8 :: v_dual_mul_f32 v59, 0xbf763a35, v163
	v_mul_f32_e32 v52, 0xbf763a35, v161
	v_fmamk_f32 v176, v30, 0x3dbcf732, v47
	v_fma_f32 v5, 0x3f3d2fb0, v37, -v73
	v_add_f32_e32 v178, v178, v182
	v_fma_f32 v183, 0x3f6eb680, v40, -v101
	v_add_f32_e32 v197, v204, v197
	v_fmamk_f32 v184, v36, 0xbf1a4643, v130
	v_dual_add_f32 v180, v180, v185 :: v_dual_fmamk_f32 v185, v33, 0x3dbcf732, v144
	v_fmamk_f32 v12, v33, 0x3ee437d1, v78
	v_dual_add_f32 v2, v2, v10 :: v_dual_mul_f32 v71, 0x3f2c7751, v163
	v_mul_f32_e32 v122, 0x3f2c7751, v14
	v_dual_mul_f32 v146, 0xbe3c28d5, v14 :: v_dual_add_f32 v183, v205, v183
	v_dual_mul_f32 v60, 0x3f4c4adb, v163 :: v_dual_add_f32 v5, v181, v5
	v_fma_f32 v175, 0xbe8c1d8e, v34, -v59
	v_fma_f32 v187, 0x3f6eb680, v39, -v85
	v_fmamk_f32 v203, v38, 0xbe8c1d8e, v156
	v_mul_f32_e32 v74, 0xbe3c28d5, v165
	v_fmamk_f32 v198, v36, 0xbe8c1d8e, v159
	v_fma_f32 v204, 0xbf7ba420, v34, -v70
	v_fmamk_f32 v186, v35, 0x3f6eb680, v128
	v_fmamk_f32 v205, v30, 0xbf1a4643, v77
	v_add_f32_e32 v178, v178, v184
	v_add_f32_e32 v2, v2, v12
	v_dual_add_f32 v142, v28, v142 :: v_dual_mul_f32 v125, 0xbf65296c, v167
	v_dual_mul_f32 v154, 0xbf65296c, v14 :: v_dual_add_f32 v203, v206, v203
	v_fma_f32 v189, 0xbf7ba420, v37, -v74
	v_fmamk_f32 v8, v35, 0x3f3d2fb0, v122
	v_add_f32_e32 v198, v207, v198
	v_add_f32_e32 v180, v180, v187
	;; [unrolled: 1-line block ×3, first 2 shown]
	v_dual_add_f32 v174, v3, v175 :: v_dual_add_f32 v175, v5, v204
	v_add_f32_e32 v178, v178, v186
	v_add_f32_e32 v142, v142, v133
	v_fma_f32 v191, 0x3f3d2fb0, v34, -v71
	v_fma_f32 v209, 0xbf7ba420, v41, -v123
	v_fmamk_f32 v6, v36, 0x3ee437d1, v150
	v_fma_f32 v7, 0x3ee437d1, v40, -v125
	v_add_f32_e32 v194, v198, v8
	v_add_f32_e32 v8, v178, v188
	v_dual_fmac_f32 v125, 0x3ee437d1, v40 :: v_dual_add_f32 v12, v180, v189
	v_add_f32_e32 v119, v142, v119
	v_fma_f32 v199, 0xbe8c1d8e, v40, -v116
	v_add_f32_e32 v6, v195, v6
	v_add_f32_e32 v8, v8, v190
	;; [unrolled: 1-line block ×3, first 2 shown]
	v_mul_f32_e32 v191, 0xbe3c28d5, v15
	v_fmamk_f32 v206, v35, 0xbf7ba420, v146
	v_add_f32_e32 v110, v119, v110
	v_fmac_f32_e32 v118, 0xbf59a7d5, v43
	v_mul_f32_e32 v190, 0xbf4c4adb, v171
	v_add_f32_e32 v4, v4, v209
	v_mul_f32_e32 v98, 0xbe3c28d5, v166
	v_dual_mul_f32 v54, 0x3f65296c, v161 :: v_dual_add_f32 v7, v197, v7
	v_fma_f32 v200, 0x3dbcf732, v37, -v81
	s_delay_alu instid0(VALU_DEP_4) | instskip(NEXT) | instid1(VALU_DEP_4)
	v_add_f32_e32 v199, v4, v199
	v_fma_f32 v208, 0xbf7ba420, v39, -v98
	v_mul_f32_e32 v108, 0xbeb8f4ab, v139
	v_dual_add_f32 v6, v6, v206 :: v_dual_fmac_f32 v81, 0x3dbcf732, v37
	v_dual_add_f32 v100, v110, v100 :: v_dual_fmac_f32 v129, 0xbe8c1d8e, v41
	s_delay_alu instid0(VALU_DEP_4) | instskip(NEXT) | instid1(VALU_DEP_3)
	v_dual_fmamk_f32 v182, v36, 0x3f6eb680, v155 :: v_dual_add_f32 v7, v7, v208
	v_dual_fmamk_f32 v197, v31, 0x3f6eb680, v108 :: v_dual_add_f32 v6, v6, v185
	s_delay_alu instid0(VALU_DEP_3) | instskip(SKIP_3) | instid1(VALU_DEP_4)
	v_dual_add_f32 v100, v100, v93 :: v_dual_fmac_f32 v101, 0x3f6eb680, v40
	v_mul_f32_e32 v102, 0xbf65296c, v166
	v_fmamk_f32 v210, v35, 0x3ee437d1, v154
	v_add_f32_e32 v182, v203, v182
	v_dual_add_f32 v180, v6, v197 :: v_dual_add_f32 v91, v100, v91
	s_delay_alu instid0(VALU_DEP_4) | instskip(SKIP_1) | instid1(VALU_DEP_4)
	v_fma_f32 v209, 0x3ee437d1, v39, -v102
	v_dual_mul_f32 v79, 0xbeb8f4ab, v163 :: v_dual_mul_f32 v96, 0xbeb8f4ab, v162
	v_dual_add_f32 v182, v182, v210 :: v_dual_mul_f32 v133, 0xbf65296c, v168
	s_delay_alu instid0(VALU_DEP_4)
	v_dual_add_f32 v86, v91, v86 :: v_dual_fmac_f32 v151, 0x3ee437d1, v43
	v_fma_f32 v177, 0x3dbcf732, v32, -v46
	v_fma_f32 v195, 0xbf59a7d5, v37, -v83
	v_fmamk_f32 v4, v31, 0xbf1a4643, v121
	v_add_f32_e32 v183, v183, v209
	v_dual_add_f32 v178, v182, v201 :: v_dual_mul_f32 v93, 0xbf06c442, v139
	v_add_f32_e32 v80, v86, v80
	s_delay_alu instid0(VALU_DEP_3)
	v_dual_mul_f32 v104, 0xbeb8f4ab, v165 :: v_dual_add_f32 v179, v183, v195
	v_fma_f32 v193, 0xbe8c1d8e, v32, -v52
	v_fma_f32 v184, 0x3ee437d1, v32, -v54
	;; [unrolled: 1-line block ×4, first 2 shown]
	v_fmamk_f32 v186, v33, 0x3f6eb680, v96
	v_fma_f32 v187, 0x3f3d2fb0, v39, -v109
	v_add_f32_e32 v7, v7, v200
	v_add_f32_e32 v178, v178, v4
	;; [unrolled: 1-line block ×3, first 2 shown]
	v_dual_add_f32 v2, v174, v177 :: v_dual_add_f32 v69, v69, v80
	v_fma_f32 v80, 0xbf7ba420, v45, -v148
	v_add_f32_e32 v181, v7, v203
	v_add_f32_e32 v10, v179, v10
	;; [unrolled: 1-line block ×3, first 2 shown]
	v_dual_add_f32 v7, v13, v9 :: v_dual_add_f32 v6, v175, v184
	v_add_f32_e32 v9, v180, v205
	v_add_f32_e32 v11, v178, v11
	v_dual_add_f32 v12, v199, v187 :: v_dual_add_f32 v53, v53, v69
	v_fma_f32 v13, 0x3f6eb680, v37, -v104
	v_mul_f32_e32 v175, 0xbf7ee86f, v163
	v_fma_f32 v176, 0x3f3d2fb0, v32, -v49
	v_dual_add_f32 v177, v194, v186 :: v_dual_mul_f32 v180, 0xbf06c442, v111
	v_add_f32_e32 v27, v27, v53
	v_mul_f32_e32 v183, 0xbf2c7751, v173
	v_add_f32_e32 v69, v29, v80
	v_fma_f32 v80, 0x3f6eb680, v44, -v137
	v_fmamk_f32 v178, v31, 0x3dbcf732, v94
	v_fmac_f32_e32 v106, 0xbf7ba420, v43
	v_fma_f32 v207, 0xbf1a4643, v32, -v50
	v_dual_add_f32 v12, v12, v13 :: v_dual_fmac_f32 v97, 0x3f6eb680, v42
	v_fma_f32 v13, 0x3dbcf732, v34, -v175
	v_mul_f32_e32 v174, 0xbf06c442, v161
	v_mul_f32_e32 v186, 0xbf7ee86f, v172
	v_dual_mul_f32 v182, 0xbf2c7751, v170 :: v_dual_add_f32 v53, v69, v80
	v_dual_add_f32 v69, v28, v106 :: v_dual_add_f32 v10, v10, v176
	v_dual_add_f32 v176, v177, v178 :: v_dual_fmamk_f32 v177, v30, 0xbf59a7d5, v180
	v_dual_fmamk_f32 v178, v45, 0x3f3d2fb0, v183 :: v_dual_add_f32 v5, v8, v192
	v_add_f32_e32 v8, v181, v207
	v_add_f32_e32 v12, v12, v13
	s_delay_alu instid0(VALU_DEP_3)
	v_dual_add_f32 v13, v176, v177 :: v_dual_add_f32 v176, v29, v178
	v_fmac_f32_e32 v113, 0x3dbcf732, v41
	v_fmamk_f32 v177, v44, 0x3dbcf732, v186
	v_fma_f32 v178, 0x3f3d2fb0, v43, -v182
	v_mul_f32_e32 v181, 0xbf7ee86f, v169
	v_fma_f32 v179, 0xbf59a7d5, v32, -v174
	s_delay_alu instid0(VALU_DEP_4) | instskip(NEXT) | instid1(VALU_DEP_4)
	v_dual_mul_f32 v193, 0x3f06c442, v14 :: v_dual_add_f32 v176, v176, v177
	v_add_f32_e32 v178, v28, v178
	s_delay_alu instid0(VALU_DEP_4) | instskip(NEXT) | instid1(VALU_DEP_4)
	v_fma_f32 v184, 0x3dbcf732, v42, -v181
	v_dual_mul_f32 v177, 0xbf4c4adb, v168 :: v_dual_add_f32 v12, v12, v179
	v_fmac_f32_e32 v59, 0xbe8c1d8e, v34
	v_fmamk_f32 v179, v38, 0xbf1a4643, v190
	s_delay_alu instid0(VALU_DEP_4) | instskip(NEXT) | instid1(VALU_DEP_4)
	v_add_f32_e32 v184, v178, v184
	v_fma_f32 v185, 0xbf1a4643, v41, -v177
	v_fmac_f32_e32 v85, 0x3f6eb680, v39
	s_delay_alu instid0(VALU_DEP_4) | instskip(SKIP_1) | instid1(VALU_DEP_4)
	v_dual_fmamk_f32 v187, v35, 0xbf59a7d5, v193 :: v_dual_add_f32 v176, v176, v179
	v_fmamk_f32 v179, v36, 0xbf7ba420, v191
	v_add_f32_e32 v184, v184, v185
	v_mul_f32_e32 v194, 0x3f763a35, v162
	v_mul_f32_e32 v189, 0x3f65296c, v139
	v_fmac_f32_e32 v74, 0xbf7ba420, v37
	v_dual_add_f32 v176, v176, v179 :: v_dual_fmac_f32 v71, 0x3f3d2fb0, v34
	v_mul_f32_e32 v178, 0xbe3c28d5, v167
	v_fmac_f32_e32 v124, 0xbf1a4643, v43
	v_fmamk_f32 v192, v33, 0xbe8c1d8e, v194
	s_delay_alu instid0(VALU_DEP_4) | instskip(NEXT) | instid1(VALU_DEP_4)
	v_dual_add_f32 v188, v176, v187 :: v_dual_fmac_f32 v117, 0xbe8c1d8e, v42
	v_fma_f32 v185, 0xbf7ba420, v40, -v178
	v_mul_f32_e32 v179, 0x3f06c442, v166
	v_mul_f32_e32 v187, 0xbeb8f4ab, v173
	s_delay_alu instid0(VALU_DEP_4) | instskip(NEXT) | instid1(VALU_DEP_4)
	v_dual_add_f32 v173, v188, v192 :: v_dual_fmamk_f32 v192, v31, 0x3ee437d1, v189
	v_add_f32_e32 v184, v184, v185
	s_delay_alu instid0(VALU_DEP_4) | instskip(SKIP_3) | instid1(VALU_DEP_4)
	v_fma_f32 v185, 0xbf59a7d5, v39, -v179
	v_fmac_f32_e32 v115, 0x3f6eb680, v41
	v_mul_f32_e32 v176, 0x3f763a35, v165
	v_add_f32_e32 v196, v173, v192
	v_dual_fmamk_f32 v195, v45, 0x3f6eb680, v187 :: v_dual_add_f32 v184, v184, v185
	v_fmac_f32_e32 v87, 0xbf59a7d5, v40
	s_delay_alu instid0(VALU_DEP_4) | instskip(SKIP_3) | instid1(VALU_DEP_4)
	v_fma_f32 v185, 0xbe8c1d8e, v37, -v176
	v_mul_f32_e32 v188, 0xbf2c7751, v172
	v_mul_f32_e32 v173, 0xbf65296c, v171
	v_fmac_f32_e32 v136, 0xbe8c1d8e, v43
	v_dual_mul_f32 v172, 0x3f65296c, v163 :: v_dual_add_f32 v185, v184, v185
	v_dual_add_f32 v184, v29, v195 :: v_dual_fmac_f32 v73, 0x3f3d2fb0, v37
	v_fmamk_f32 v195, v44, 0x3f3d2fb0, v188
	s_delay_alu instid0(VALU_DEP_3) | instskip(SKIP_1) | instid1(VALU_DEP_3)
	v_fma_f32 v197, 0x3ee437d1, v34, -v172
	v_dual_mul_f32 v192, 0x3eb8f4ab, v111 :: v_dual_mul_f32 v171, 0x3eb8f4ab, v161
	v_dual_fmamk_f32 v198, v38, 0x3ee437d1, v173 :: v_dual_add_f32 v195, v184, v195
	s_delay_alu instid0(VALU_DEP_3) | instskip(NEXT) | instid1(VALU_DEP_3)
	v_dual_mul_f32 v184, 0xbf7ee86f, v15 :: v_dual_add_f32 v197, v185, v197
	v_fmamk_f32 v15, v30, 0x3f6eb680, v192
	s_delay_alu instid0(VALU_DEP_4) | instskip(NEXT) | instid1(VALU_DEP_3)
	v_fma_f32 v199, 0x3f6eb680, v32, -v171
	v_dual_add_f32 v195, v195, v198 :: v_dual_fmamk_f32 v198, v36, 0x3dbcf732, v184
	v_fmac_f32_e32 v75, 0x3dbcf732, v39
	v_mul_f32_e32 v185, 0xbf763a35, v14
	v_add_f32_e32 v15, v196, v15
	v_dual_add_f32 v14, v197, v199 :: v_dual_fmac_f32 v127, 0xbf59a7d5, v42
	v_add_f32_e32 v195, v195, v198
	s_delay_alu instid0(VALU_DEP_4) | instskip(SKIP_2) | instid1(VALU_DEP_3)
	v_dual_fmamk_f32 v196, v35, 0xbe8c1d8e, v185 :: v_dual_add_f32 v197, v72, v29
	v_fmac_f32_e32 v126, 0x3f3d2fb0, v41
	v_mul_f32_e32 v72, 0xbf2c7751, v169
	v_dual_fmac_f32 v98, 0xbf7ba420, v39 :: v_dual_add_f32 v169, v195, v196
	s_delay_alu instid0(VALU_DEP_4) | instskip(SKIP_3) | instid1(VALU_DEP_4)
	v_dual_add_f32 v195, v197, v68 :: v_dual_mul_f32 v68, 0xbf4c4adb, v162
	v_fmac_f32_e32 v79, 0x3f6eb680, v34
	v_fmac_f32_e32 v132, 0xbf7ba420, v42
	;; [unrolled: 1-line block ×3, first 2 shown]
	v_dual_add_f32 v162, v195, v65 :: v_dual_fmac_f32 v103, 0xbf1a4643, v42
	v_fmac_f32_e32 v60, 0xbf1a4643, v34
	v_fmac_f32_e32 v175, 0x3dbcf732, v34
	;; [unrolled: 1-line block ×3, first 2 shown]
	s_delay_alu instid0(VALU_DEP_4) | instskip(SKIP_3) | instid1(VALU_DEP_4)
	v_add_f32_e32 v162, v162, v63
	v_fmac_f32_e32 v109, 0x3f3d2fb0, v39
	v_fmac_f32_e32 v174, 0xbf59a7d5, v32
	;; [unrolled: 1-line block ×3, first 2 shown]
	v_dual_fmac_f32 v181, 0x3dbcf732, v42 :: v_dual_add_f32 v162, v162, v57
	v_fma_f32 v168, 0x3ee437d1, v41, -v133
	v_mul_f32_e32 v65, 0xbf7ee86f, v167
	v_fmac_f32_e32 v76, 0xbf1a4643, v39
	s_delay_alu instid0(VALU_DEP_4) | instskip(SKIP_3) | instid1(VALU_DEP_4)
	v_dual_fmac_f32 v114, 0x3ee437d1, v42 :: v_dual_add_f32 v55, v162, v55
	v_fmac_f32_e32 v133, 0x3ee437d1, v41
	v_fmac_f32_e32 v64, 0x3ee437d1, v37
	;; [unrolled: 1-line block ×3, first 2 shown]
	v_dual_mul_f32 v63, 0xbf763a35, v166 :: v_dual_add_f32 v56, v55, v56
	v_mul_f32_e32 v55, 0xbf06c442, v163
	v_fmac_f32_e32 v84, 0xbf1a4643, v40
	v_fmac_f32_e32 v171, 0x3f6eb680, v32
	s_delay_alu instid0(VALU_DEP_4) | instskip(NEXT) | instid1(VALU_DEP_4)
	v_dual_mul_f32 v57, 0xbf4c4adb, v165 :: v_dual_add_f32 v62, v56, v62
	v_fma_f32 v91, 0xbf59a7d5, v34, -v55
	v_fmac_f32_e32 v46, 0x3dbcf732, v32
	v_fmac_f32_e32 v55, 0xbf59a7d5, v34
	;; [unrolled: 1-line block ×3, first 2 shown]
	v_dual_add_f32 v62, v62, v51 :: v_dual_mul_f32 v51, 0xbe3c28d5, v161
	v_fmac_f32_e32 v70, 0xbf7ba420, v34
	v_fmac_f32_e32 v54, 0x3ee437d1, v32
	s_delay_alu instid0(VALU_DEP_3) | instskip(SKIP_3) | instid1(VALU_DEP_4)
	v_dual_fmac_f32 v141, 0x3dbcf732, v43 :: v_dual_add_f32 v62, v19, v62
	v_fmac_f32_e32 v102, 0x3ee437d1, v39
	v_fmamk_f32 v100, v31, 0xbf59a7d5, v93
	v_fmac_f32_e32 v50, 0xbf1a4643, v32
	v_dual_fmac_f32 v123, 0xbf7ba420, v41 :: v_dual_add_f32 v62, v18, v62
	v_fmac_f32_e32 v116, 0xbe8c1d8e, v40
	v_fmac_f32_e32 v49, 0x3f3d2fb0, v32
	;; [unrolled: 1-line block ×4, first 2 shown]
	v_add_f32_e32 v23, v23, v62
	v_fma_f32 v62, 0xbf59a7d5, v38, -v99
	s_delay_alu instid0(VALU_DEP_2) | instskip(NEXT) | instid1(VALU_DEP_2)
	v_dual_add_f32 v22, v22, v23 :: v_dual_add_nc_u32 v41, 0x55, v48
	v_dual_add_f32 v23, v26, v27 :: v_dual_add_f32 v26, v53, v62
	v_fma_f32 v27, 0x3f3d2fb0, v36, -v89
	s_delay_alu instid0(VALU_DEP_3) | instskip(NEXT) | instid1(VALU_DEP_1)
	v_dual_add_f32 v53, v69, v97 :: v_dual_add_f32 v20, v20, v22
	v_dual_add_f32 v17, v17, v20 :: v_dual_fmac_f32 v182, 0x3f3d2fb0, v43
	s_delay_alu instid0(VALU_DEP_4) | instskip(NEXT) | instid1(VALU_DEP_4)
	v_add_f32_e32 v22, v25, v23
	v_add_f32_e32 v23, v26, v27
	v_fma_f32 v25, 0xbf1a4643, v35, -v82
	s_delay_alu instid0(VALU_DEP_4) | instskip(NEXT) | instid1(VALU_DEP_4)
	v_dual_add_f32 v26, v53, v92 :: v_dual_add_f32 v27, v16, v17
	v_add_f32_e32 v20, v24, v22
	v_fma_f32 v16, 0xbf59a7d5, v45, -v107
	s_delay_alu instid0(VALU_DEP_4)
	v_add_f32_e32 v22, v23, v25
	v_fma_f32 v23, 0x3ee437d1, v33, -v78
	v_add_f32_e32 v24, v26, v88
	v_add_f32_e32 v26, v21, v20
	;; [unrolled: 1-line block ×3, first 2 shown]
	v_fma_f32 v21, 0x3ee437d1, v44, -v112
	v_add_f32_e32 v17, v22, v23
	v_fma_f32 v22, 0xbe8c1d8e, v31, -v58
	v_add_f32_e32 v23, v28, v118
	v_add_f32_e32 v20, v24, v76
	;; [unrolled: 1-line block ×3, first 2 shown]
	v_fma_f32 v21, 0x3dbcf732, v38, -v134
	v_add_f32_e32 v17, v17, v22
	v_add_f32_e32 v22, v23, v114
	v_fma_f32 v23, 0x3dbcf732, v30, -v47
	v_add_f32_e32 v20, v20, v64
	v_add_f32_e32 v16, v16, v21
	v_fma_f32 v21, 0xbf1a4643, v36, -v130
	s_delay_alu instid0(VALU_DEP_4) | instskip(SKIP_2) | instid1(VALU_DEP_4)
	v_dual_add_f32 v22, v22, v113 :: v_dual_add_f32 v17, v17, v23
	v_fma_f32 v23, 0xbf1a4643, v45, -v138
	v_add_f32_e32 v20, v20, v59
	v_add_f32_e32 v16, v16, v21
	v_fma_f32 v21, 0x3f6eb680, v35, -v128
	v_fma_f32 v24, 0xbf7ba420, v33, -v95
	v_dual_add_f32 v22, v22, v84 :: v_dual_add_f32 v23, v29, v23
	v_fma_f32 v25, 0xbe8c1d8e, v44, -v131
	s_delay_alu instid0(VALU_DEP_4) | instskip(SKIP_3) | instid1(VALU_DEP_4)
	v_add_f32_e32 v21, v16, v21
	v_add_f32_e32 v16, v20, v46
	v_fma_f32 v46, 0x3f3d2fb0, v33, -v145
	v_add_f32_e32 v47, v28, v136
	v_dual_add_f32 v53, v28, v141 :: v_dual_add_f32 v20, v21, v24
	v_add_f32_e32 v21, v22, v85
	v_add_f32_e32 v22, v23, v25
	v_fma_f32 v23, 0x3f6eb680, v38, -v160
	v_fma_f32 v24, 0x3f3d2fb0, v31, -v90
	v_add_f32_e32 v25, v28, v124
	v_add_f32_e32 v21, v21, v74
	v_add_f32_e32 v47, v47, v127
	v_add_f32_e32 v22, v22, v23
	v_fma_f32 v23, 0xbf59a7d5, v36, -v152
	v_add_f32_e32 v20, v20, v24
	v_add_f32_e32 v24, v21, v71
	v_fma_f32 v58, 0xbf7ba420, v38, -v164
	s_delay_alu instid0(VALU_DEP_4) | instskip(SKIP_4) | instid1(VALU_DEP_3)
	v_dual_fmac_f32 v178, 0xbf7ba420, v40 :: v_dual_add_f32 v21, v22, v23
	v_fma_f32 v22, 0x3dbcf732, v35, -v149
	v_add_f32_e32 v23, v25, v117
	v_fma_f32 v25, 0xbe8c1d8e, v30, -v67
	v_fmac_f32_e32 v172, 0x3ee437d1, v34
	v_dual_add_f32 v22, v21, v22 :: v_dual_add_f32 v23, v23, v115
	s_delay_alu instid0(VALU_DEP_3) | instskip(SKIP_2) | instid1(VALU_DEP_4)
	v_add_f32_e32 v21, v20, v25
	v_fma_f32 v25, 0xbe8c1d8e, v45, -v143
	v_add_f32_e32 v20, v24, v52
	v_dual_add_f32 v22, v22, v46 :: v_dual_add_f32 v23, v23, v87
	v_mul_f32_e32 v170, 0xbeb8f4ab, v170
	s_delay_alu instid0(VALU_DEP_4)
	v_add_f32_e32 v24, v29, v25
	v_fma_f32 v25, 0xbf59a7d5, v44, -v135
	v_fma_f32 v46, 0xbf7ba420, v31, -v105
	v_add_f32_e32 v23, v23, v75
	v_fma_f32 v198, 0x3f6eb680, v43, -v170
	v_fma_f32 v52, 0x3dbcf732, v33, -v144
	v_add_f32_e32 v24, v24, v25
	v_fma_f32 v25, 0x3f3d2fb0, v38, -v153
	v_dual_add_f32 v23, v23, v73 :: v_dual_add_f32 v22, v22, v46
	v_fmac_f32_e32 v170, 0x3f6eb680, v43
	v_fmac_f32_e32 v176, 0xbe8c1d8e, v37
	s_delay_alu instid0(VALU_DEP_4) | instskip(SKIP_1) | instid1(VALU_DEP_1)
	v_add_f32_e32 v24, v24, v25
	v_fma_f32 v25, 0x3ee437d1, v36, -v150
	v_dual_add_f32 v46, v23, v70 :: v_dual_add_f32 v23, v24, v25
	v_add_f32_e32 v25, v47, v126
	v_fma_f32 v24, 0xbf7ba420, v35, -v146
	v_fma_f32 v47, 0x3ee437d1, v30, -v66
	v_add_f32_e32 v196, v28, v198
	v_fma_f32 v197, 0x3f3d2fb0, v42, -v72
	s_delay_alu instid0(VALU_DEP_4) | instskip(NEXT) | instid1(VALU_DEP_4)
	v_dual_add_f32 v25, v25, v125 :: v_dual_add_f32 v24, v23, v24
	v_add_f32_e32 v23, v22, v47
	v_fma_f32 v47, 0x3dbcf732, v45, -v147
	s_delay_alu instid0(VALU_DEP_3) | instskip(SKIP_2) | instid1(VALU_DEP_4)
	v_dual_add_f32 v142, v196, v197 :: v_dual_add_f32 v25, v25, v98
	v_add_f32_e32 v22, v46, v54
	v_add_f32_e32 v24, v24, v52
	;; [unrolled: 1-line block ×3, first 2 shown]
	v_fma_f32 v47, 0xbf7ba420, v44, -v140
	v_add_f32_e32 v25, v25, v81
	v_fmamk_f32 v167, v33, 0xbf1a4643, v68
	v_add_f32_e32 v119, v142, v168
	v_fma_f32 v142, 0x3dbcf732, v40, -v65
	v_fma_f32 v52, 0x3f6eb680, v31, -v108
	v_add_f32_e32 v46, v46, v47
	v_add_f32_e32 v166, v169, v167
	v_fma_f32 v47, 0xbe8c1d8e, v38, -v156
	v_add_f32_e32 v110, v119, v142
	v_fma_f32 v119, 0xbe8c1d8e, v39, -v63
	v_add_f32_e32 v24, v24, v52
	v_add_f32_e32 v52, v25, v79
	;; [unrolled: 1-line block ×3, first 2 shown]
	v_fma_f32 v46, 0x3f6eb680, v36, -v155
	v_add_f32_e32 v47, v53, v132
	v_fma_f32 v53, 0xbf1a4643, v30, -v77
	v_add_f32_e32 v110, v110, v119
	v_fma_f32 v119, 0xbf1a4643, v37, -v57
	s_delay_alu instid0(VALU_DEP_4) | instskip(SKIP_3) | instid1(VALU_DEP_4)
	v_dual_add_f32 v46, v25, v46 :: v_dual_add_f32 v47, v47, v129
	v_fma_f32 v54, 0x3ee437d1, v35, -v154
	v_add_f32_e32 v25, v24, v53
	v_fma_f32 v24, 0x3ee437d1, v45, -v158
	v_dual_add_f32 v110, v110, v119 :: v_dual_add_f32 v47, v47, v101
	s_delay_alu instid0(VALU_DEP_4) | instskip(SKIP_1) | instid1(VALU_DEP_4)
	v_add_f32_e32 v46, v46, v54
	v_fma_f32 v53, 0xbf59a7d5, v33, -v120
	v_add_f32_e32 v24, v29, v24
	v_fma_f32 v54, 0xbf1a4643, v44, -v157
	v_dual_mul_f32 v56, 0xbe3c28d5, v111 :: v_dual_add_f32 v47, v47, v102
	s_delay_alu instid0(VALU_DEP_4) | instskip(SKIP_1) | instid1(VALU_DEP_4)
	v_add_f32_e32 v46, v46, v53
	v_fma_f32 v53, 0xbf1a4643, v31, -v121
	v_add_f32_e32 v54, v24, v54
	s_delay_alu instid0(VALU_DEP_4) | instskip(SKIP_1) | instid1(VALU_DEP_4)
	v_dual_add_f32 v24, v52, v50 :: v_dual_add_f32 v47, v47, v83
	v_fma_f32 v52, 0xbe8c1d8e, v36, -v159
	v_add_f32_e32 v46, v46, v53
	s_delay_alu instid0(VALU_DEP_4) | instskip(SKIP_3) | instid1(VALU_DEP_4)
	v_dual_add_f32 v50, v54, v58 :: v_dual_add_f32 v53, v28, v151
	v_add_f32_e32 v100, v166, v100
	v_fma_f32 v54, 0x3f3d2fb0, v45, -v183
	v_add_f32_e32 v86, v110, v91
	v_add_f32_e32 v50, v50, v52
	v_fma_f32 v52, 0x3f3d2fb0, v35, -v122
	v_add_f32_e32 v53, v53, v103
	;; [unrolled: 3-line block ×3, first 2 shown]
	v_fma_f32 v47, 0x3f3d2fb0, v30, -v61
	v_fmamk_f32 v91, v30, 0xbf7ba420, v56
	v_add_f32_e32 v50, v50, v52
	v_dual_add_f32 v52, v53, v123 :: v_dual_add_f32 v53, v54, v58
	s_delay_alu instid0(VALU_DEP_4)
	v_add_f32_e32 v47, v46, v47
	v_fma_f32 v46, 0xbf1a4643, v38, -v190
	v_add_f32_e32 v19, v100, v91
	v_fma_f32 v91, 0xbf7ba420, v32, -v51
	v_fma_f32 v54, 0x3f6eb680, v33, -v96
	v_add_f32_e32 v52, v52, v116
	v_add_f32_e32 v46, v53, v46
	v_fma_f32 v53, 0xbf7ba420, v36, -v191
	v_add_f32_e32 v18, v86, v91
	v_add_f32_e32 v50, v50, v54
	;; [unrolled: 3-line block ×3, first 2 shown]
	v_fma_f32 v58, 0xbf59a7d5, v35, -v193
	s_delay_alu instid0(VALU_DEP_4) | instskip(NEXT) | instid1(VALU_DEP_4)
	v_dual_add_f32 v46, v59, v49 :: v_dual_add_f32 v49, v50, v54
	v_add_f32_e32 v50, v52, v104
	v_add_f32_e32 v59, v28, v182
	s_delay_alu instid0(VALU_DEP_4)
	v_add_f32_e32 v52, v53, v58
	v_fma_f32 v53, 0xbe8c1d8e, v33, -v194
	v_fma_f32 v45, 0x3f6eb680, v45, -v187
	;; [unrolled: 1-line block ×3, first 2 shown]
	v_add_f32_e32 v28, v28, v170
	v_fmac_f32_e32 v72, 0x3f3d2fb0, v42
	v_add_f32_e32 v52, v52, v53
	v_fma_f32 v53, 0x3ee437d1, v31, -v189
	v_add_f32_e32 v29, v29, v45
	v_fma_f32 v38, 0x3ee437d1, v38, -v173
	;; [unrolled: 2-line block ×3, first 2 shown]
	v_add_f32_e32 v52, v52, v53
	v_add_f32_e32 v53, v59, v181
	s_delay_alu instid0(VALU_DEP_4) | instskip(SKIP_2) | instid1(VALU_DEP_4)
	v_dual_add_f32 v29, v29, v44 :: v_dual_add_f32 v28, v28, v133
	v_fmac_f32_e32 v65, 0x3dbcf732, v40
	v_fma_f32 v35, 0xbe8c1d8e, v35, -v185
	v_add_f32_e32 v43, v53, v177
	s_delay_alu instid0(VALU_DEP_4) | instskip(NEXT) | instid1(VALU_DEP_4)
	v_add_f32_e32 v29, v29, v38
	v_dual_fmac_f32 v63, 0xbe8c1d8e, v39 :: v_dual_add_f32 v28, v28, v65
	v_fma_f32 v45, 0x3f6eb680, v30, -v192
	s_delay_alu instid0(VALU_DEP_4) | instskip(NEXT) | instid1(VALU_DEP_4)
	v_add_f32_e32 v42, v43, v178
	v_add_f32_e32 v36, v29, v36
	v_fma_f32 v33, 0xbf1a4643, v33, -v68
	v_fmac_f32_e32 v57, 0xbf1a4643, v37
	s_delay_alu instid0(VALU_DEP_4) | instskip(NEXT) | instid1(VALU_DEP_4)
	v_dual_add_f32 v29, v52, v45 :: v_dual_add_f32 v38, v42, v179
	v_add_f32_e32 v40, v36, v35
	v_mad_co_u64_u32 v[35:36], null, s8, v48, 0
	v_fma_f32 v31, 0xbf59a7d5, v31, -v93
	s_delay_alu instid0(VALU_DEP_4) | instskip(NEXT) | instid1(VALU_DEP_4)
	v_add_f32_e32 v38, v38, v176
	v_dual_add_f32 v40, v40, v33 :: v_dual_add_nc_u32 v43, 0xaa, v48
	v_fmac_f32_e32 v51, 0xbf7ba420, v32
	v_fma_f32 v54, 0xbf59a7d5, v30, -v180
	s_delay_alu instid0(VALU_DEP_4)
	v_dual_add_f32 v39, v38, v172 :: v_dual_add_f32 v38, v28, v63
	v_mov_b32_e32 v28, v36
	v_add_co_u32 v44, vcc_lo, s10, v0
	s_wait_alu 0xfffd
	v_add_co_ci_u32_e32 v45, vcc_lo, s11, v1, vcc_lo
	v_add_f32_e32 v36, v38, v57
	v_mad_co_u64_u32 v[37:38], null, s8, v41, 0
	v_mad_co_u64_u32 v[33:34], null, s9, v48, v[28:29]
	v_add_f32_e32 v28, v39, v171
	v_add_f32_e32 v39, v40, v31
	v_mad_co_u64_u32 v[31:32], null, s8, v43, 0
	v_fma_f32 v40, 0xbf7ba420, v30, -v56
	v_mov_b32_e32 v30, v38
	v_add_f32_e32 v42, v36, v55
	v_mov_b32_e32 v36, v33
	v_add_f32_e32 v58, v50, v175
	v_add_f32_e32 v40, v39, v40
	v_mad_co_u64_u32 v[33:34], null, s9, v41, v[30:31]
	v_mov_b32_e32 v30, v32
	v_lshlrev_b64_e32 v[0:1], 3, v[35:36]
	v_add_nc_u32_e32 v41, 0xff, v48
	v_dual_add_f32 v39, v42, v51 :: v_dual_add_nc_u32 v42, 0x154, v48
	s_delay_alu instid0(VALU_DEP_4) | instskip(NEXT) | instid1(VALU_DEP_3)
	v_mad_co_u64_u32 v[34:35], null, s9, v43, v[30:31]
	v_mad_co_u64_u32 v[35:36], null, s8, v41, 0
	v_add_co_u32 v0, vcc_lo, v44, v0
	s_wait_alu 0xfffd
	v_add_co_ci_u32_e32 v1, vcc_lo, v45, v1, vcc_lo
	s_delay_alu instid0(VALU_DEP_4)
	v_mov_b32_e32 v32, v34
	v_mov_b32_e32 v38, v33
	v_mad_co_u64_u32 v[33:34], null, s8, v42, 0
	global_store_b64 v[0:1], v[26:27], off
	v_mov_b32_e32 v26, v36
	v_lshlrev_b64_e32 v[30:31], 3, v[31:32]
	v_add_nc_u32_e32 v32, 0x1a9, v48
	v_lshlrev_b64_e32 v[0:1], 3, v[37:38]
	v_add_nc_u32_e32 v43, 0x1fe, v48
	v_mad_co_u64_u32 v[26:27], null, s9, v41, v[26:27]
	s_delay_alu instid0(VALU_DEP_4)
	v_mad_co_u64_u32 v[37:38], null, s8, v32, 0
	v_mov_b32_e32 v27, v34
	v_add_co_u32 v0, vcc_lo, v44, v0
	s_wait_alu 0xfffd
	v_add_co_ci_u32_e32 v1, vcc_lo, v45, v1, vcc_lo
	v_add_co_u32 v30, vcc_lo, v44, v30
	v_mov_b32_e32 v36, v26
	v_mad_co_u64_u32 v[26:27], null, s9, v42, v[27:28]
	v_mad_co_u64_u32 v[41:42], null, s8, v43, 0
	v_mov_b32_e32 v27, v38
	s_wait_alu 0xfffd
	v_add_co_ci_u32_e32 v31, vcc_lo, v45, v31, vcc_lo
	s_clause 0x1
	global_store_b64 v[0:1], v[18:19], off
	global_store_b64 v[30:31], v[14:15], off
	v_mad_co_u64_u32 v[14:15], null, s9, v32, v[27:28]
	v_lshlrev_b64_e32 v[0:1], 3, v[35:36]
	v_dual_mov_b32 v15, v42 :: v_dual_mov_b32 v34, v26
	v_add_nc_u32_e32 v30, 0x2a8, v48
	v_add_nc_u32_e32 v32, 0x2fd, v48
	v_add_f32_e32 v50, v49, v54
	v_add_co_u32 v0, vcc_lo, v44, v0
	v_mov_b32_e32 v38, v14
	v_mad_co_u64_u32 v[14:15], null, s9, v43, v[15:16]
	s_wait_alu 0xfffd
	v_add_co_ci_u32_e32 v1, vcc_lo, v45, v1, vcc_lo
	v_lshlrev_b64_e32 v[18:19], 3, v[33:34]
	v_add_nc_u32_e32 v15, 0x253, v48
	v_add_nc_u32_e32 v33, 0x352, v48
	global_store_b64 v[0:1], v[12:13], off
	v_mov_b32_e32 v42, v14
	v_lshlrev_b64_e32 v[0:1], 3, v[37:38]
	v_mad_co_u64_u32 v[12:13], null, s8, v15, 0
	v_add_co_u32 v18, vcc_lo, v44, v18
	s_wait_alu 0xfffd
	v_add_co_ci_u32_e32 v19, vcc_lo, v45, v19, vcc_lo
	s_delay_alu instid0(VALU_DEP_4)
	v_add_co_u32 v0, vcc_lo, v44, v0
	s_wait_alu 0xfffd
	v_add_co_ci_u32_e32 v1, vcc_lo, v45, v1, vcc_lo
	global_store_b64 v[18:19], v[10:11], off
	v_mov_b32_e32 v10, v13
	v_lshlrev_b64_e32 v[13:14], 3, v[41:42]
	v_mad_co_u64_u32 v[18:19], null, s8, v30, 0
	global_store_b64 v[0:1], v[8:9], off
	v_mad_co_u64_u32 v[10:11], null, s9, v15, v[10:11]
	v_add_co_u32 v26, vcc_lo, v44, v13
	s_wait_alu 0xfffd
	v_add_co_ci_u32_e32 v27, vcc_lo, v45, v14, vcc_lo
	v_mad_co_u64_u32 v[14:15], null, s8, v32, 0
	v_mov_b32_e32 v11, v19
	v_mov_b32_e32 v13, v10
	global_store_b64 v[26:27], v[6:7], off
	v_dual_add_f32 v49, v58, v174 :: v_dual_add_nc_u32 v26, 0x3a7, v48
	v_mad_co_u64_u32 v[30:31], null, s9, v30, v[11:12]
	v_mad_co_u64_u32 v[10:11], null, s8, v33, 0
	v_mov_b32_e32 v0, v15
	v_lshlrev_b64_e32 v[6:7], 3, v[12:13]
	s_delay_alu instid0(VALU_DEP_4) | instskip(NEXT) | instid1(VALU_DEP_3)
	v_mov_b32_e32 v19, v30
	v_mad_co_u64_u32 v[0:1], null, s9, v32, v[0:1]
	v_mov_b32_e32 v1, v11
	s_delay_alu instid0(VALU_DEP_4) | instskip(NEXT) | instid1(VALU_DEP_4)
	v_add_co_u32 v6, vcc_lo, v44, v6
	v_lshlrev_b64_e32 v[8:9], 3, v[18:19]
	s_wait_alu 0xfffd
	v_add_co_ci_u32_e32 v7, vcc_lo, v45, v7, vcc_lo
	v_mad_co_u64_u32 v[11:12], null, s9, v33, v[1:2]
	v_mad_co_u64_u32 v[12:13], null, s8, v26, 0
	v_mov_b32_e32 v15, v0
	v_add_co_u32 v0, vcc_lo, v44, v8
	global_store_b64 v[6:7], v[4:5], off
	s_wait_alu 0xfffd
	v_add_co_ci_u32_e32 v1, vcc_lo, v45, v9, vcc_lo
	v_lshlrev_b64_e32 v[5:6], 3, v[14:15]
	v_dual_mov_b32 v4, v13 :: v_dual_add_nc_u32 v9, 0x3fc, v48
	global_store_b64 v[0:1], v[2:3], off
	v_lshlrev_b64_e32 v[0:1], 3, v[10:11]
	v_add_nc_u32_e32 v11, 0x451, v48
	v_mad_co_u64_u32 v[2:3], null, s9, v26, v[4:5]
	v_add_co_u32 v3, vcc_lo, v44, v5
	s_wait_alu 0xfffd
	v_add_co_ci_u32_e32 v4, vcc_lo, v45, v6, vcc_lo
	v_add_co_u32 v0, vcc_lo, v44, v0
	s_wait_alu 0xfffd
	v_add_co_ci_u32_e32 v1, vcc_lo, v45, v1, vcc_lo
	v_mov_b32_e32 v13, v2
	v_mad_co_u64_u32 v[5:6], null, s8, v9, 0
	s_clause 0x1
	global_store_b64 v[3:4], v[16:17], off
	global_store_b64 v[0:1], v[20:21], off
	v_lshlrev_b64_e32 v[0:1], 3, v[12:13]
	v_add_nc_u32_e32 v12, 0x4a6, v48
	v_mad_co_u64_u32 v[2:3], null, s8, v11, 0
	v_dual_mov_b32 v4, v6 :: v_dual_add_nc_u32 v15, 0x4fb, v48
	s_delay_alu instid0(VALU_DEP_3) | instskip(SKIP_1) | instid1(VALU_DEP_3)
	v_mad_co_u64_u32 v[7:8], null, s8, v12, 0
	v_add_co_u32 v0, vcc_lo, v44, v0
	v_mad_co_u64_u32 v[9:10], null, s9, v9, v[4:5]
	v_mad_co_u64_u32 v[3:4], null, s9, v11, v[3:4]
	;; [unrolled: 1-line block ×3, first 2 shown]
	v_mov_b32_e32 v4, v8
	s_wait_alu 0xfffd
	v_add_co_ci_u32_e32 v1, vcc_lo, v45, v1, vcc_lo
	v_add_nc_u32_e32 v16, 0x550, v48
	v_mov_b32_e32 v6, v9
	v_mad_co_u64_u32 v[12:13], null, s9, v12, v[4:5]
	global_store_b64 v[0:1], v[22:23], off
	v_mad_co_u64_u32 v[13:14], null, s8, v16, 0
	v_mov_b32_e32 v0, v11
	v_lshlrev_b64_e32 v[4:5], 3, v[5:6]
	v_lshlrev_b64_e32 v[2:3], 3, v[2:3]
	v_mov_b32_e32 v8, v12
	s_delay_alu instid0(VALU_DEP_4) | instskip(SKIP_4) | instid1(VALU_DEP_3)
	v_mad_co_u64_u32 v[0:1], null, s9, v15, v[0:1]
	v_mov_b32_e32 v1, v14
	v_add_co_u32 v4, vcc_lo, v44, v4
	s_wait_alu 0xfffd
	v_add_co_ci_u32_e32 v5, vcc_lo, v45, v5, vcc_lo
	v_mad_co_u64_u32 v[14:15], null, s9, v16, v[1:2]
	v_mov_b32_e32 v11, v0
	v_lshlrev_b64_e32 v[6:7], 3, v[7:8]
	v_add_co_u32 v0, vcc_lo, v44, v2
	s_wait_alu 0xfffd
	v_add_co_ci_u32_e32 v1, vcc_lo, v45, v3, vcc_lo
	v_lshlrev_b64_e32 v[2:3], 3, v[10:11]
	s_delay_alu instid0(VALU_DEP_4) | instskip(SKIP_3) | instid1(VALU_DEP_4)
	v_add_co_u32 v6, vcc_lo, v44, v6
	v_lshlrev_b64_e32 v[8:9], 3, v[13:14]
	s_wait_alu 0xfffd
	v_add_co_ci_u32_e32 v7, vcc_lo, v45, v7, vcc_lo
	v_add_co_u32 v2, vcc_lo, v44, v2
	s_wait_alu 0xfffd
	v_add_co_ci_u32_e32 v3, vcc_lo, v45, v3, vcc_lo
	v_add_co_u32 v8, vcc_lo, v44, v8
	s_wait_alu 0xfffd
	v_add_co_ci_u32_e32 v9, vcc_lo, v45, v9, vcc_lo
	s_clause 0x4
	global_store_b64 v[4:5], v[24:25], off
	global_store_b64 v[0:1], v[46:47], off
	;; [unrolled: 1-line block ×5, first 2 shown]
.LBB0_23:
	s_nop 0
	s_sendmsg sendmsg(MSG_DEALLOC_VGPRS)
	s_endpgm
	.section	.rodata,"a",@progbits
	.p2align	6, 0x0
	.amdhsa_kernel fft_rtc_fwd_len1445_factors_17_5_17_wgs_85_tpt_85_halfLds_sp_ip_CI_sbrr_dirReg
		.amdhsa_group_segment_fixed_size 0
		.amdhsa_private_segment_fixed_size 0
		.amdhsa_kernarg_size 88
		.amdhsa_user_sgpr_count 2
		.amdhsa_user_sgpr_dispatch_ptr 0
		.amdhsa_user_sgpr_queue_ptr 0
		.amdhsa_user_sgpr_kernarg_segment_ptr 1
		.amdhsa_user_sgpr_dispatch_id 0
		.amdhsa_user_sgpr_private_segment_size 0
		.amdhsa_wavefront_size32 1
		.amdhsa_uses_dynamic_stack 0
		.amdhsa_enable_private_segment 0
		.amdhsa_system_sgpr_workgroup_id_x 1
		.amdhsa_system_sgpr_workgroup_id_y 0
		.amdhsa_system_sgpr_workgroup_id_z 0
		.amdhsa_system_sgpr_workgroup_info 0
		.amdhsa_system_vgpr_workitem_id 0
		.amdhsa_next_free_vgpr 212
		.amdhsa_next_free_sgpr 35
		.amdhsa_reserve_vcc 1
		.amdhsa_float_round_mode_32 0
		.amdhsa_float_round_mode_16_64 0
		.amdhsa_float_denorm_mode_32 3
		.amdhsa_float_denorm_mode_16_64 3
		.amdhsa_fp16_overflow 0
		.amdhsa_workgroup_processor_mode 1
		.amdhsa_memory_ordered 1
		.amdhsa_forward_progress 0
		.amdhsa_round_robin_scheduling 0
		.amdhsa_exception_fp_ieee_invalid_op 0
		.amdhsa_exception_fp_denorm_src 0
		.amdhsa_exception_fp_ieee_div_zero 0
		.amdhsa_exception_fp_ieee_overflow 0
		.amdhsa_exception_fp_ieee_underflow 0
		.amdhsa_exception_fp_ieee_inexact 0
		.amdhsa_exception_int_div_zero 0
	.end_amdhsa_kernel
	.text
.Lfunc_end0:
	.size	fft_rtc_fwd_len1445_factors_17_5_17_wgs_85_tpt_85_halfLds_sp_ip_CI_sbrr_dirReg, .Lfunc_end0-fft_rtc_fwd_len1445_factors_17_5_17_wgs_85_tpt_85_halfLds_sp_ip_CI_sbrr_dirReg
                                        ; -- End function
	.section	.AMDGPU.csdata,"",@progbits
; Kernel info:
; codeLenInByte = 17908
; NumSgprs: 37
; NumVgprs: 212
; ScratchSize: 0
; MemoryBound: 0
; FloatMode: 240
; IeeeMode: 1
; LDSByteSize: 0 bytes/workgroup (compile time only)
; SGPRBlocks: 4
; VGPRBlocks: 26
; NumSGPRsForWavesPerEU: 37
; NumVGPRsForWavesPerEU: 212
; Occupancy: 7
; WaveLimiterHint : 1
; COMPUTE_PGM_RSRC2:SCRATCH_EN: 0
; COMPUTE_PGM_RSRC2:USER_SGPR: 2
; COMPUTE_PGM_RSRC2:TRAP_HANDLER: 0
; COMPUTE_PGM_RSRC2:TGID_X_EN: 1
; COMPUTE_PGM_RSRC2:TGID_Y_EN: 0
; COMPUTE_PGM_RSRC2:TGID_Z_EN: 0
; COMPUTE_PGM_RSRC2:TIDIG_COMP_CNT: 0
	.text
	.p2alignl 7, 3214868480
	.fill 96, 4, 3214868480
	.type	__hip_cuid_ed68510c166b9f26,@object ; @__hip_cuid_ed68510c166b9f26
	.section	.bss,"aw",@nobits
	.globl	__hip_cuid_ed68510c166b9f26
__hip_cuid_ed68510c166b9f26:
	.byte	0                               ; 0x0
	.size	__hip_cuid_ed68510c166b9f26, 1

	.ident	"AMD clang version 19.0.0git (https://github.com/RadeonOpenCompute/llvm-project roc-6.4.0 25133 c7fe45cf4b819c5991fe208aaa96edf142730f1d)"
	.section	".note.GNU-stack","",@progbits
	.addrsig
	.addrsig_sym __hip_cuid_ed68510c166b9f26
	.amdgpu_metadata
---
amdhsa.kernels:
  - .args:
      - .actual_access:  read_only
        .address_space:  global
        .offset:         0
        .size:           8
        .value_kind:     global_buffer
      - .offset:         8
        .size:           8
        .value_kind:     by_value
      - .actual_access:  read_only
        .address_space:  global
        .offset:         16
        .size:           8
        .value_kind:     global_buffer
      - .actual_access:  read_only
        .address_space:  global
        .offset:         24
        .size:           8
        .value_kind:     global_buffer
      - .offset:         32
        .size:           8
        .value_kind:     by_value
      - .actual_access:  read_only
        .address_space:  global
        .offset:         40
        .size:           8
        .value_kind:     global_buffer
      - .actual_access:  read_only
        .address_space:  global
        .offset:         48
        .size:           8
        .value_kind:     global_buffer
      - .offset:         56
        .size:           4
        .value_kind:     by_value
      - .actual_access:  read_only
        .address_space:  global
        .offset:         64
        .size:           8
        .value_kind:     global_buffer
      - .actual_access:  read_only
        .address_space:  global
        .offset:         72
        .size:           8
        .value_kind:     global_buffer
      - .address_space:  global
        .offset:         80
        .size:           8
        .value_kind:     global_buffer
    .group_segment_fixed_size: 0
    .kernarg_segment_align: 8
    .kernarg_segment_size: 88
    .language:       OpenCL C
    .language_version:
      - 2
      - 0
    .max_flat_workgroup_size: 85
    .name:           fft_rtc_fwd_len1445_factors_17_5_17_wgs_85_tpt_85_halfLds_sp_ip_CI_sbrr_dirReg
    .private_segment_fixed_size: 0
    .sgpr_count:     37
    .sgpr_spill_count: 0
    .symbol:         fft_rtc_fwd_len1445_factors_17_5_17_wgs_85_tpt_85_halfLds_sp_ip_CI_sbrr_dirReg.kd
    .uniform_work_group_size: 1
    .uses_dynamic_stack: false
    .vgpr_count:     212
    .vgpr_spill_count: 0
    .wavefront_size: 32
    .workgroup_processor_mode: 1
amdhsa.target:   amdgcn-amd-amdhsa--gfx1201
amdhsa.version:
  - 1
  - 2
...

	.end_amdgpu_metadata
